;; amdgpu-corpus repo=ROCm/rocFFT kind=compiled arch=gfx950 opt=O3
	.text
	.amdgcn_target "amdgcn-amd-amdhsa--gfx950"
	.amdhsa_code_object_version 6
	.protected	fft_rtc_back_len867_factors_17_17_3_wgs_51_tpt_51_halfLds_dp_ip_CI_sbrr_dirReg ; -- Begin function fft_rtc_back_len867_factors_17_17_3_wgs_51_tpt_51_halfLds_dp_ip_CI_sbrr_dirReg
	.globl	fft_rtc_back_len867_factors_17_17_3_wgs_51_tpt_51_halfLds_dp_ip_CI_sbrr_dirReg
	.p2align	8
	.type	fft_rtc_back_len867_factors_17_17_3_wgs_51_tpt_51_halfLds_dp_ip_CI_sbrr_dirReg,@function
fft_rtc_back_len867_factors_17_17_3_wgs_51_tpt_51_halfLds_dp_ip_CI_sbrr_dirReg: ; @fft_rtc_back_len867_factors_17_17_3_wgs_51_tpt_51_halfLds_dp_ip_CI_sbrr_dirReg
; %bb.0:
	s_load_dwordx2 s[12:13], s[0:1], 0x18
	s_load_dwordx4 s[4:7], s[0:1], 0x0
	s_load_dwordx2 s[10:11], s[0:1], 0x50
	v_mul_u32_u24_e32 v1, 0x506, v0
	v_add_u32_sdwa v6, s2, v1 dst_sel:DWORD dst_unused:UNUSED_PAD src0_sel:DWORD src1_sel:WORD_1
	s_waitcnt lgkmcnt(0)
	s_load_dwordx2 s[8:9], s[12:13], 0x0
	v_mov_b32_e32 v4, 0
	v_cmp_lt_u64_e64 s[2:3], s[6:7], 2
	v_mov_b32_e32 v7, v4
	s_and_b64 vcc, exec, s[2:3]
	v_mov_b64_e32 v[2:3], 0
	s_cbranch_vccnz .LBB0_8
; %bb.1:
	s_load_dwordx2 s[2:3], s[0:1], 0x10
	s_add_u32 s14, s12, 8
	s_addc_u32 s15, s13, 0
	s_mov_b64 s[16:17], 1
	v_mov_b64_e32 v[2:3], 0
	s_waitcnt lgkmcnt(0)
	s_add_u32 s18, s2, 8
	s_addc_u32 s19, s3, 0
.LBB0_2:                                ; =>This Inner Loop Header: Depth=1
	s_load_dwordx2 s[20:21], s[18:19], 0x0
                                        ; implicit-def: $vgpr8_vgpr9
	s_waitcnt lgkmcnt(0)
	v_or_b32_e32 v5, s21, v7
	v_cmp_ne_u64_e32 vcc, 0, v[4:5]
	s_and_saveexec_b64 s[2:3], vcc
	s_xor_b64 s[22:23], exec, s[2:3]
	s_cbranch_execz .LBB0_4
; %bb.3:                                ;   in Loop: Header=BB0_2 Depth=1
	v_cvt_f32_u32_e32 v1, s20
	v_cvt_f32_u32_e32 v5, s21
	s_sub_u32 s2, 0, s20
	s_subb_u32 s3, 0, s21
	v_fmac_f32_e32 v1, 0x4f800000, v5
	v_rcp_f32_e32 v1, v1
	s_nop 0
	v_mul_f32_e32 v1, 0x5f7ffffc, v1
	v_mul_f32_e32 v5, 0x2f800000, v1
	v_trunc_f32_e32 v5, v5
	v_fmac_f32_e32 v1, 0xcf800000, v5
	v_cvt_u32_f32_e32 v5, v5
	v_cvt_u32_f32_e32 v1, v1
	v_mul_lo_u32 v8, s2, v5
	v_mul_hi_u32 v10, s2, v1
	v_mul_lo_u32 v9, s3, v1
	v_add_u32_e32 v10, v10, v8
	v_mul_lo_u32 v12, s2, v1
	v_add_u32_e32 v13, v10, v9
	v_mul_hi_u32 v8, v1, v12
	v_mul_hi_u32 v11, v1, v13
	v_mul_lo_u32 v10, v1, v13
	v_mov_b32_e32 v9, v4
	v_lshl_add_u64 v[8:9], v[8:9], 0, v[10:11]
	v_mul_hi_u32 v11, v5, v12
	v_mul_lo_u32 v12, v5, v12
	v_add_co_u32_e32 v8, vcc, v8, v12
	v_mul_hi_u32 v10, v5, v13
	s_nop 0
	v_addc_co_u32_e32 v8, vcc, v9, v11, vcc
	v_mov_b32_e32 v9, v4
	s_nop 0
	v_addc_co_u32_e32 v11, vcc, 0, v10, vcc
	v_mul_lo_u32 v10, v5, v13
	v_lshl_add_u64 v[8:9], v[8:9], 0, v[10:11]
	v_add_co_u32_e32 v1, vcc, v1, v8
	v_mul_lo_u32 v10, s2, v1
	s_nop 0
	v_addc_co_u32_e32 v5, vcc, v5, v9, vcc
	v_mul_lo_u32 v8, s2, v5
	v_mul_hi_u32 v9, s2, v1
	v_add_u32_e32 v8, v9, v8
	v_mul_lo_u32 v9, s3, v1
	v_add_u32_e32 v12, v8, v9
	v_mul_hi_u32 v14, v5, v10
	v_mul_lo_u32 v15, v5, v10
	v_mul_hi_u32 v9, v1, v12
	v_mul_lo_u32 v8, v1, v12
	v_mul_hi_u32 v10, v1, v10
	v_mov_b32_e32 v11, v4
	v_lshl_add_u64 v[8:9], v[10:11], 0, v[8:9]
	v_add_co_u32_e32 v8, vcc, v8, v15
	v_mul_hi_u32 v13, v5, v12
	s_nop 0
	v_addc_co_u32_e32 v8, vcc, v9, v14, vcc
	v_mul_lo_u32 v10, v5, v12
	s_nop 0
	v_addc_co_u32_e32 v11, vcc, 0, v13, vcc
	v_mov_b32_e32 v9, v4
	v_lshl_add_u64 v[8:9], v[8:9], 0, v[10:11]
	v_add_co_u32_e32 v1, vcc, v1, v8
	v_mul_hi_u32 v10, v6, v1
	s_nop 0
	v_addc_co_u32_e32 v5, vcc, v5, v9, vcc
	v_mad_u64_u32 v[8:9], s[2:3], v6, v5, 0
	v_mov_b32_e32 v11, v4
	v_lshl_add_u64 v[8:9], v[10:11], 0, v[8:9]
	v_mad_u64_u32 v[12:13], s[2:3], v7, v1, 0
	v_add_co_u32_e32 v1, vcc, v8, v12
	v_mad_u64_u32 v[10:11], s[2:3], v7, v5, 0
	s_nop 0
	v_addc_co_u32_e32 v8, vcc, v9, v13, vcc
	v_mov_b32_e32 v9, v4
	s_nop 0
	v_addc_co_u32_e32 v11, vcc, 0, v11, vcc
	v_lshl_add_u64 v[8:9], v[8:9], 0, v[10:11]
	v_mul_lo_u32 v1, s21, v8
	v_mul_lo_u32 v5, s20, v9
	v_mad_u64_u32 v[10:11], s[2:3], s20, v8, 0
	v_add3_u32 v1, v11, v5, v1
	v_sub_u32_e32 v5, v7, v1
	v_mov_b32_e32 v11, s21
	v_sub_co_u32_e32 v14, vcc, v6, v10
	v_lshl_add_u64 v[12:13], v[8:9], 0, 1
	s_nop 0
	v_subb_co_u32_e64 v5, s[2:3], v5, v11, vcc
	v_subrev_co_u32_e64 v10, s[2:3], s20, v14
	v_subb_co_u32_e32 v1, vcc, v7, v1, vcc
	s_nop 0
	v_subbrev_co_u32_e64 v5, s[2:3], 0, v5, s[2:3]
	v_cmp_le_u32_e64 s[2:3], s21, v5
	v_cmp_le_u32_e32 vcc, s21, v1
	s_nop 0
	v_cndmask_b32_e64 v11, 0, -1, s[2:3]
	v_cmp_le_u32_e64 s[2:3], s20, v10
	s_nop 1
	v_cndmask_b32_e64 v10, 0, -1, s[2:3]
	v_cmp_eq_u32_e64 s[2:3], s21, v5
	s_nop 1
	v_cndmask_b32_e64 v5, v11, v10, s[2:3]
	v_lshl_add_u64 v[10:11], v[8:9], 0, 2
	v_cmp_ne_u32_e64 s[2:3], 0, v5
	s_nop 1
	v_cndmask_b32_e64 v5, v13, v11, s[2:3]
	v_cndmask_b32_e64 v11, 0, -1, vcc
	v_cmp_le_u32_e32 vcc, s20, v14
	s_nop 1
	v_cndmask_b32_e64 v13, 0, -1, vcc
	v_cmp_eq_u32_e32 vcc, s21, v1
	s_nop 1
	v_cndmask_b32_e32 v1, v11, v13, vcc
	v_cmp_ne_u32_e32 vcc, 0, v1
	v_cndmask_b32_e64 v1, v12, v10, s[2:3]
	s_nop 0
	v_cndmask_b32_e32 v9, v9, v5, vcc
	v_cndmask_b32_e32 v8, v8, v1, vcc
.LBB0_4:                                ;   in Loop: Header=BB0_2 Depth=1
	s_andn2_saveexec_b64 s[2:3], s[22:23]
	s_cbranch_execz .LBB0_6
; %bb.5:                                ;   in Loop: Header=BB0_2 Depth=1
	v_cvt_f32_u32_e32 v1, s20
	s_sub_i32 s22, 0, s20
	v_rcp_iflag_f32_e32 v1, v1
	s_nop 0
	v_mul_f32_e32 v1, 0x4f7ffffe, v1
	v_cvt_u32_f32_e32 v1, v1
	v_mul_lo_u32 v5, s22, v1
	v_mul_hi_u32 v5, v1, v5
	v_add_u32_e32 v1, v1, v5
	v_mul_hi_u32 v1, v6, v1
	v_mul_lo_u32 v5, v1, s20
	v_sub_u32_e32 v5, v6, v5
	v_add_u32_e32 v8, 1, v1
	v_subrev_u32_e32 v9, s20, v5
	v_cmp_le_u32_e32 vcc, s20, v5
	s_nop 1
	v_cndmask_b32_e32 v5, v5, v9, vcc
	v_cndmask_b32_e32 v1, v1, v8, vcc
	v_add_u32_e32 v8, 1, v1
	v_cmp_le_u32_e32 vcc, s20, v5
	v_mov_b32_e32 v9, v4
	s_nop 0
	v_cndmask_b32_e32 v8, v1, v8, vcc
.LBB0_6:                                ;   in Loop: Header=BB0_2 Depth=1
	s_or_b64 exec, exec, s[2:3]
	v_mad_u64_u32 v[10:11], s[2:3], v8, s20, 0
	s_load_dwordx2 s[2:3], s[14:15], 0x0
	v_mul_lo_u32 v1, v9, s20
	v_mul_lo_u32 v5, v8, s21
	v_add3_u32 v1, v11, v5, v1
	v_sub_co_u32_e32 v5, vcc, v6, v10
	s_add_u32 s16, s16, 1
	s_nop 0
	v_subb_co_u32_e32 v1, vcc, v7, v1, vcc
	s_addc_u32 s17, s17, 0
	s_waitcnt lgkmcnt(0)
	v_mul_lo_u32 v1, s2, v1
	v_mul_lo_u32 v6, s3, v5
	v_mad_u64_u32 v[2:3], s[2:3], s2, v5, v[2:3]
	s_add_u32 s14, s14, 8
	v_add3_u32 v3, v6, v3, v1
	s_addc_u32 s15, s15, 0
	v_mov_b64_e32 v[6:7], s[6:7]
	s_add_u32 s18, s18, 8
	v_cmp_ge_u64_e32 vcc, s[16:17], v[6:7]
	s_addc_u32 s19, s19, 0
	s_cbranch_vccnz .LBB0_9
; %bb.7:                                ;   in Loop: Header=BB0_2 Depth=1
	v_mov_b64_e32 v[6:7], v[8:9]
	s_branch .LBB0_2
.LBB0_8:
	v_mov_b64_e32 v[8:9], v[6:7]
.LBB0_9:
	s_lshl_b64 s[2:3], s[6:7], 3
	s_add_u32 s2, s12, s2
	s_addc_u32 s3, s13, s3
	s_load_dwordx2 s[6:7], s[2:3], 0x0
	s_load_dwordx2 s[12:13], s[0:1], 0x20
	s_mov_b32 s2, 0x5050506
                                        ; implicit-def: $vgpr120
                                        ; implicit-def: $vgpr117
                                        ; implicit-def: $vgpr118
                                        ; implicit-def: $vgpr119
                                        ; implicit-def: $vgpr115
	s_waitcnt lgkmcnt(0)
	v_mul_lo_u32 v1, s6, v9
	v_mul_lo_u32 v4, s7, v8
	v_mad_u64_u32 v[2:3], s[0:1], s6, v8, v[2:3]
	v_add3_u32 v3, v4, v3, v1
	v_mul_hi_u32 v1, v0, s2
	v_mul_u32_u24_e32 v1, 51, v1
	v_sub_u32_e32 v114, v0, v1
	v_cmp_gt_u64_e32 vcc, s[12:13], v[8:9]
	v_cmp_le_u64_e64 s[0:1], s[12:13], v[8:9]
	v_add_u32_e32 v116, 51, v114
	s_and_saveexec_b64 s[2:3], s[0:1]
	s_xor_b64 s[0:1], exec, s[2:3]
; %bb.10:
	v_add_u32_e32 v120, 51, v114
	v_add_u32_e32 v117, 0x66, v114
	;; [unrolled: 1-line block ×5, first 2 shown]
; %bb.11:
	s_or_saveexec_b64 s[0:1], s[0:1]
	v_lshl_add_u64 v[68:69], v[2:3], 4, s[10:11]
                                        ; implicit-def: $vgpr66_vgpr67
                                        ; implicit-def: $vgpr62_vgpr63
                                        ; implicit-def: $vgpr58_vgpr59
                                        ; implicit-def: $vgpr54_vgpr55
                                        ; implicit-def: $vgpr34_vgpr35
                                        ; implicit-def: $vgpr26_vgpr27
                                        ; implicit-def: $vgpr18_vgpr19
                                        ; implicit-def: $vgpr6_vgpr7
                                        ; implicit-def: $vgpr2_vgpr3
                                        ; implicit-def: $vgpr14_vgpr15
                                        ; implicit-def: $vgpr22_vgpr23
                                        ; implicit-def: $vgpr10_vgpr11
                                        ; implicit-def: $vgpr38_vgpr39
                                        ; implicit-def: $vgpr42_vgpr43
                                        ; implicit-def: $vgpr46_vgpr47
                                        ; implicit-def: $vgpr50_vgpr51
                                        ; implicit-def: $vgpr30_vgpr31
	s_xor_b64 exec, exec, s[0:1]
	s_cbranch_execz .LBB0_13
; %bb.12:
	v_mad_u64_u32 v[0:1], s[2:3], s8, v114, 0
	v_mov_b32_e32 v2, v1
	v_mad_u64_u32 v[2:3], s[2:3], s9, v114, v[2:3]
	v_mov_b32_e32 v1, v2
	;; [unrolled: 2-line block ×3, first 2 shown]
	v_mad_u64_u32 v[4:5], s[2:3], s9, v116, v[4:5]
	v_lshl_add_u64 v[0:1], v[0:1], 4, v[68:69]
	v_mov_b32_e32 v3, v4
	v_add_u32_e32 v117, 0x66, v114
	v_lshl_add_u64 v[2:3], v[2:3], 4, v[68:69]
	global_load_dwordx4 v[28:31], v[0:1], off
	global_load_dwordx4 v[48:51], v[2:3], off
	v_mad_u64_u32 v[0:1], s[2:3], s8, v117, 0
	v_mov_b32_e32 v2, v1
	v_mad_u64_u32 v[2:3], s[2:3], s9, v117, v[2:3]
	v_add_u32_e32 v118, 0x99, v114
	v_mov_b32_e32 v1, v2
	v_mad_u64_u32 v[2:3], s[2:3], s8, v118, 0
	v_mov_b32_e32 v4, v3
	v_mad_u64_u32 v[4:5], s[2:3], s9, v118, v[4:5]
	v_lshl_add_u64 v[0:1], v[0:1], 4, v[68:69]
	v_mov_b32_e32 v3, v4
	v_add_u32_e32 v119, 0xcc, v114
	v_lshl_add_u64 v[2:3], v[2:3], 4, v[68:69]
	global_load_dwordx4 v[44:47], v[0:1], off
	global_load_dwordx4 v[40:43], v[2:3], off
	v_mad_u64_u32 v[0:1], s[2:3], s8, v119, 0
	v_mov_b32_e32 v2, v1
	v_mad_u64_u32 v[2:3], s[2:3], s9, v119, v[2:3]
	v_add_u32_e32 v115, 0xff, v114
	v_mov_b32_e32 v1, v2
	v_mad_u64_u32 v[2:3], s[2:3], s8, v115, 0
	v_mov_b32_e32 v4, v3
	v_mad_u64_u32 v[4:5], s[2:3], s9, v115, v[4:5]
	v_mov_b32_e32 v3, v4
	v_lshl_add_u64 v[0:1], v[0:1], 4, v[68:69]
	v_lshl_add_u64 v[2:3], v[2:3], 4, v[68:69]
	global_load_dwordx4 v[36:39], v[0:1], off
	global_load_dwordx4 v[8:11], v[2:3], off
	v_add_u32_e32 v3, 0x132, v114
	v_mad_u64_u32 v[0:1], s[2:3], s8, v3, 0
	v_mov_b32_e32 v2, v1
	v_mad_u64_u32 v[2:3], s[2:3], s9, v3, v[2:3]
	v_add_u32_e32 v5, 0x165, v114
	v_mov_b32_e32 v1, v2
	v_mad_u64_u32 v[2:3], s[2:3], s8, v5, 0
	v_mov_b32_e32 v4, v3
	v_mad_u64_u32 v[4:5], s[2:3], s9, v5, v[4:5]
	v_add_u32_e32 v7, 0x198, v114
	v_mov_b32_e32 v3, v4
	;; [unrolled: 5-line block ×3, first 2 shown]
	v_mad_u64_u32 v[6:7], s[2:3], s8, v13, 0
	v_mov_b32_e32 v12, v7
	v_mad_u64_u32 v[12:13], s[2:3], s9, v13, v[12:13]
	v_add_u32_e32 v13, 0x1fe, v114
	v_mad_u64_u32 v[16:17], s[2:3], s8, v13, 0
	v_mov_b32_e32 v7, v12
	v_mov_b32_e32 v12, v17
	v_mad_u64_u32 v[12:13], s[2:3], s9, v13, v[12:13]
	v_add_u32_e32 v13, 0x231, v114
	v_mad_u64_u32 v[18:19], s[2:3], s8, v13, 0
	v_mov_b32_e32 v17, v12
	;; [unrolled: 5-line block ×7, first 2 shown]
	v_mov_b32_e32 v12, v53
	v_mad_u64_u32 v[54:55], s[2:3], s9, v13, v[12:13]
	v_lshl_add_u64 v[0:1], v[0:1], 4, v[68:69]
	v_lshl_add_u64 v[2:3], v[2:3], 4, v[68:69]
	;; [unrolled: 1-line block ×3, first 2 shown]
	v_mov_b32_e32 v53, v54
	global_load_dwordx4 v[20:23], v[0:1], off
	global_load_dwordx4 v[12:15], v[2:3], off
	v_lshl_add_u64 v[72:73], v[6:7], 4, v[68:69]
	v_lshl_add_u64 v[74:75], v[16:17], 4, v[68:69]
	;; [unrolled: 1-line block ×8, first 2 shown]
	global_load_dwordx4 v[0:3], v[70:71], off
	global_load_dwordx4 v[4:7], v[72:73], off
	;; [unrolled: 1-line block ×9, first 2 shown]
	v_mov_b32_e32 v120, v116
.LBB0_13:
	s_or_b64 exec, exec, s[0:1]
	s_waitcnt vmcnt(15)
	v_add_f64 v[70:71], v[48:49], v[28:29]
	v_add_f64 v[72:73], v[50:51], v[30:31]
	s_waitcnt vmcnt(14)
	v_add_f64 v[70:71], v[44:45], v[70:71]
	v_add_f64 v[72:73], v[46:47], v[72:73]
	;; [unrolled: 3-line block ×13, first 2 shown]
	s_waitcnt vmcnt(2)
	v_add_f64 v[70:71], v[56:57], v[70:71]
	s_mov_b32 s2, 0x5d8e7cdc
	v_add_f64 v[72:73], v[58:59], v[72:73]
	s_waitcnt vmcnt(1)
	v_add_f64 v[70:71], v[60:61], v[70:71]
	s_waitcnt vmcnt(0)
	v_add_f64 v[94:95], v[50:51], -v[66:67]
	s_mov_b32 s3, 0xbfd71e95
	s_mov_b32 s14, 0x370991
	;; [unrolled: 1-line block ×3, first 2 shown]
	v_add_f64 v[74:75], v[62:63], v[72:73]
	v_add_f64 v[72:73], v[64:65], v[70:71]
	;; [unrolled: 1-line block ×3, first 2 shown]
	v_add_f64 v[64:65], v[48:49], -v[64:65]
	v_mul_f64 v[48:49], v[94:95], s[2:3]
	s_mov_b32 s15, 0x3fedd6d0
	s_mov_b32 s7, 0xbfe58eea
	s_mov_b32 s16, 0x75d4884
	s_mov_b32 s10, 0x7c9e640b
	v_fma_f64 v[76:77], s[14:15], v[90:91], v[48:49]
	v_fma_f64 v[80:81], v[90:91], s[14:15], -v[48:49]
	v_mul_f64 v[48:49], v[94:95], s[6:7]
	s_mov_b32 s17, 0x3fe7a5f6
	s_mov_b32 s11, 0xbfeca52d
	s_mov_b32 s18, 0x2b2883cd
	s_mov_b32 s12, 0xeb564b22
	v_fma_f64 v[84:85], s[16:17], v[90:91], v[48:49]
	v_fma_f64 v[88:89], v[90:91], s[16:17], -v[48:49]
	;; [unrolled: 7-line block ×3, first 2 shown]
	v_mul_f64 v[48:49], v[94:95], s[12:13]
	s_mov_b32 s21, 0x3fb79ee6
	s_mov_b32 s23, 0xbfeec746
	;; [unrolled: 1-line block ×6, first 2 shown]
	v_fma_f64 v[98:99], s[20:21], v[90:91], v[48:49]
	v_fma_f64 v[100:101], v[90:91], s[20:21], -v[48:49]
	v_mul_f64 v[48:49], v[94:95], s[22:23]
	s_mov_b32 s25, 0xbfd183b1
	s_mov_b32 s27, 0xbfe9895b
	;; [unrolled: 1-line block ×7, first 2 shown]
	v_add_f64 v[70:71], v[66:67], v[74:75]
	v_add_f64 v[74:75], v[66:67], v[50:51]
	v_fma_f64 v[102:103], s[24:25], v[90:91], v[48:49]
	v_fma_f64 v[104:105], v[90:91], s[24:25], -v[48:49]
	v_mul_f64 v[48:49], v[94:95], s[26:27]
	s_mov_b32 s29, 0xbfe348c8
	v_add_f64 v[50:51], v[60:61], v[44:45]
	v_add_f64 v[44:45], v[44:45], -v[60:61]
	v_add_f64 v[60:61], v[56:57], v[40:41]
	v_add_f64 v[40:41], v[40:41], -v[56:57]
	;; [unrolled: 2-line block ×3, first 2 shown]
	v_mul_f64 v[52:53], v[94:95], s[30:31]
	s_mov_b32 s35, 0xbfeb34fa
	v_mul_f64 v[94:95], v[94:95], s[36:37]
	s_mov_b32 s39, 0xbfef7484
	v_mul_f64 v[66:67], v[64:65], s[2:3]
	v_mul_f64 v[82:83], v[64:65], s[6:7]
	v_fma_f64 v[106:107], s[28:29], v[90:91], v[48:49]
	v_fma_f64 v[108:109], v[90:91], s[28:29], -v[48:49]
	v_add_f64 v[48:49], v[62:63], v[46:47]
	v_add_f64 v[62:63], v[46:47], -v[62:63]
	v_add_f64 v[46:47], v[58:59], v[42:43]
	v_add_f64 v[58:59], v[42:43], -v[58:59]
	;; [unrolled: 2-line block ×3, first 2 shown]
	v_fma_f64 v[54:55], s[34:35], v[90:91], v[52:53]
	v_fma_f64 v[52:53], v[90:91], s[34:35], -v[52:53]
	v_fma_f64 v[110:111], s[38:39], v[90:91], v[94:95]
	v_fma_f64 v[90:91], v[90:91], s[38:39], -v[94:95]
	v_mul_f64 v[94:95], v[64:65], s[10:11]
	v_mul_f64 v[122:123], v[64:65], s[12:13]
	;; [unrolled: 1-line block ×6, first 2 shown]
	v_fma_f64 v[78:79], v[74:75], s[14:15], -v[66:67]
	v_fmac_f64_e32 v[66:67], s[14:15], v[74:75]
	v_fma_f64 v[86:87], v[74:75], s[16:17], -v[82:83]
	v_fmac_f64_e32 v[82:83], s[16:17], v[74:75]
	;; [unrolled: 2-line block ×8, first 2 shown]
	v_add_f64 v[74:75], v[28:29], v[76:77]
	v_add_f64 v[76:77], v[30:31], v[78:79]
	;; [unrolled: 1-line block ×21, first 2 shown]
	v_mul_f64 v[64:65], v[62:63], s[6:7]
	v_add_f64 v[96:97], v[28:29], v[96:97]
	v_add_f64 v[98:99], v[28:29], v[98:99]
	;; [unrolled: 1-line block ×11, first 2 shown]
	v_fma_f64 v[90:91], s[16:17], v[50:51], v[64:65]
	v_add_f64 v[74:75], v[90:91], v[74:75]
	v_mul_f64 v[90:91], v[44:45], s[6:7]
	v_fma_f64 v[64:65], v[50:51], s[16:17], -v[64:65]
	v_fma_f64 v[138:139], v[48:49], s[16:17], -v[90:91]
	v_add_f64 v[64:65], v[64:65], v[78:79]
	v_fmac_f64_e32 v[90:91], s[16:17], v[48:49]
	v_mul_f64 v[78:79], v[62:63], s[12:13]
	v_add_f64 v[66:67], v[90:91], v[66:67]
	v_fma_f64 v[90:91], s[20:21], v[50:51], v[78:79]
	v_add_f64 v[80:81], v[90:91], v[80:81]
	v_mul_f64 v[90:91], v[44:45], s[12:13]
	v_fma_f64 v[78:79], v[50:51], s[20:21], -v[78:79]
	v_add_f64 v[76:77], v[138:139], v[76:77]
	v_fma_f64 v[138:139], v[48:49], s[20:21], -v[90:91]
	v_add_f64 v[78:79], v[78:79], v[86:87]
	v_fmac_f64_e32 v[90:91], s[20:21], v[48:49]
	v_mul_f64 v[86:87], v[62:63], s[26:27]
	v_add_f64 v[82:83], v[90:91], v[82:83]
	v_fma_f64 v[90:91], s[28:29], v[50:51], v[86:87]
	v_add_f64 v[88:89], v[90:91], v[88:89]
	v_mul_f64 v[90:91], v[44:45], s[26:27]
	v_add_f64 v[84:85], v[138:139], v[84:85]
	v_fma_f64 v[138:139], v[48:49], s[28:29], -v[90:91]
	v_fmac_f64_e32 v[90:91], s[28:29], v[48:49]
	v_fma_f64 v[86:87], v[50:51], s[28:29], -v[86:87]
	v_add_f64 v[90:91], v[90:91], v[94:95]
	v_mul_f64 v[94:95], v[62:63], s[36:37]
	v_add_f64 v[86:87], v[86:87], v[96:97]
	v_fma_f64 v[96:97], s[38:39], v[50:51], v[94:95]
	v_add_f64 v[96:97], v[96:97], v[98:99]
	v_mul_f64 v[98:99], v[44:45], s[36:37]
	v_fma_f64 v[94:95], v[50:51], s[38:39], -v[94:95]
	s_mov_b32 s43, 0x3fe0d888
	s_mov_b32 s42, s30
	v_add_f64 v[92:93], v[138:139], v[92:93]
	v_fma_f64 v[138:139], v[48:49], s[38:39], -v[98:99]
	v_add_f64 v[94:95], v[94:95], v[100:101]
	v_fmac_f64_e32 v[98:99], s[38:39], v[48:49]
	v_mul_f64 v[100:101], v[62:63], s[42:43]
	v_add_f64 v[98:99], v[98:99], v[122:123]
	v_fma_f64 v[122:123], s[34:35], v[50:51], v[100:101]
	v_add_f64 v[102:103], v[122:123], v[102:103]
	v_mul_f64 v[122:123], v[44:45], s[42:43]
	v_add_f64 v[112:113], v[138:139], v[112:113]
	v_fma_f64 v[138:139], v[48:49], s[34:35], -v[122:123]
	v_fma_f64 v[100:101], v[50:51], s[34:35], -v[100:101]
	v_fmac_f64_e32 v[122:123], s[34:35], v[48:49]
	s_mov_b32 s41, 0x3feec746
	s_mov_b32 s40, s22
	v_add_f64 v[100:101], v[100:101], v[104:105]
	v_add_f64 v[104:105], v[122:123], v[126:127]
	v_mul_f64 v[122:123], v[62:63], s[40:41]
	v_fma_f64 v[126:127], s[24:25], v[50:51], v[122:123]
	v_add_f64 v[106:107], v[126:127], v[106:107]
	v_mul_f64 v[126:127], v[44:45], s[40:41]
	v_add_f64 v[124:125], v[138:139], v[124:125]
	v_fma_f64 v[138:139], v[48:49], s[24:25], -v[126:127]
	v_fma_f64 v[122:123], v[50:51], s[24:25], -v[122:123]
	v_fmac_f64_e32 v[126:127], s[24:25], v[48:49]
	s_mov_b32 s45, 0x3feca52d
	s_mov_b32 s44, s10
	v_add_f64 v[108:109], v[122:123], v[108:109]
	v_add_f64 v[122:123], v[126:127], v[130:131]
	v_mul_f64 v[126:127], v[62:63], s[44:45]
	v_fma_f64 v[130:131], s[18:19], v[50:51], v[126:127]
	v_add_f64 v[54:55], v[130:131], v[54:55]
	v_mul_f64 v[130:131], v[44:45], s[44:45]
	s_mov_b32 s47, 0x3fd71e95
	s_mov_b32 s46, s2
	v_add_f64 v[128:129], v[138:139], v[128:129]
	v_fma_f64 v[138:139], v[48:49], s[18:19], -v[130:131]
	v_fma_f64 v[126:127], v[50:51], s[18:19], -v[126:127]
	v_fmac_f64_e32 v[130:131], s[18:19], v[48:49]
	v_mul_f64 v[62:63], v[62:63], s[46:47]
	v_add_f64 v[52:53], v[126:127], v[52:53]
	v_add_f64 v[126:127], v[130:131], v[134:135]
	v_fma_f64 v[130:131], s[14:15], v[50:51], v[62:63]
	v_mul_f64 v[44:45], v[44:45], s[46:47]
	v_add_f64 v[110:111], v[130:131], v[110:111]
	v_fma_f64 v[130:131], v[48:49], s[14:15], -v[44:45]
	v_fmac_f64_e32 v[44:45], s[14:15], v[48:49]
	v_fma_f64 v[50:51], v[50:51], s[14:15], -v[62:63]
	v_add_f64 v[30:31], v[44:45], v[30:31]
	v_mul_f64 v[44:45], v[58:59], s[10:11]
	v_add_f64 v[28:29], v[50:51], v[28:29]
	v_fma_f64 v[48:49], s[18:19], v[60:61], v[44:45]
	v_mul_f64 v[50:51], v[40:41], s[10:11]
	v_fma_f64 v[44:45], v[60:61], s[18:19], -v[44:45]
	v_fma_f64 v[62:63], v[46:47], s[18:19], -v[50:51]
	v_add_f64 v[44:45], v[44:45], v[64:65]
	v_fmac_f64_e32 v[50:51], s[18:19], v[46:47]
	v_mul_f64 v[64:65], v[58:59], s[26:27]
	v_add_f64 v[48:49], v[48:49], v[74:75]
	v_add_f64 v[50:51], v[50:51], v[66:67]
	v_fma_f64 v[66:67], s[28:29], v[60:61], v[64:65]
	v_mul_f64 v[74:75], v[40:41], s[26:27]
	v_fma_f64 v[64:65], v[60:61], s[28:29], -v[64:65]
	s_mov_b32 s49, 0x3fc7851a
	s_mov_b32 s48, s36
	v_add_f64 v[62:63], v[62:63], v[76:77]
	v_fma_f64 v[76:77], v[46:47], s[28:29], -v[74:75]
	v_add_f64 v[64:65], v[64:65], v[78:79]
	v_fmac_f64_e32 v[74:75], s[28:29], v[46:47]
	v_mul_f64 v[78:79], v[58:59], s[48:49]
	v_add_f64 v[66:67], v[66:67], v[80:81]
	v_add_f64 v[74:75], v[74:75], v[82:83]
	v_fma_f64 v[80:81], s[38:39], v[60:61], v[78:79]
	v_mul_f64 v[82:83], v[40:41], s[48:49]
	v_fma_f64 v[78:79], v[60:61], s[38:39], -v[78:79]
	v_add_f64 v[76:77], v[76:77], v[84:85]
	v_fma_f64 v[84:85], v[46:47], s[38:39], -v[82:83]
	v_add_f64 v[78:79], v[78:79], v[86:87]
	v_fmac_f64_e32 v[82:83], s[38:39], v[46:47]
	v_mul_f64 v[86:87], v[58:59], s[40:41]
	v_add_f64 v[80:81], v[80:81], v[88:89]
	v_add_f64 v[82:83], v[82:83], v[90:91]
	v_fma_f64 v[88:89], s[24:25], v[60:61], v[86:87]
	v_mul_f64 v[90:91], v[40:41], s[40:41]
	v_fma_f64 v[86:87], v[60:61], s[24:25], -v[86:87]
	s_mov_b32 s51, 0x3fe58eea
	s_mov_b32 s50, s6
	v_add_f64 v[84:85], v[84:85], v[92:93]
	v_fma_f64 v[92:93], v[46:47], s[24:25], -v[90:91]
	v_add_f64 v[86:87], v[86:87], v[94:95]
	v_fmac_f64_e32 v[90:91], s[24:25], v[46:47]
	v_mul_f64 v[94:95], v[58:59], s[50:51]
	v_add_f64 v[88:89], v[88:89], v[96:97]
	v_add_f64 v[90:91], v[90:91], v[98:99]
	v_fma_f64 v[96:97], s[16:17], v[60:61], v[94:95]
	v_mul_f64 v[98:99], v[40:41], s[50:51]
	v_fma_f64 v[94:95], v[60:61], s[16:17], -v[94:95]
	v_add_f64 v[96:97], v[96:97], v[102:103]
	v_fma_f64 v[102:103], v[46:47], s[16:17], -v[98:99]
	v_add_f64 v[94:95], v[94:95], v[100:101]
	v_fmac_f64_e32 v[98:99], s[16:17], v[46:47]
	v_mul_f64 v[100:101], v[58:59], s[2:3]
	v_add_f64 v[98:99], v[98:99], v[104:105]
	v_fma_f64 v[104:105], s[14:15], v[60:61], v[100:101]
	v_add_f64 v[104:105], v[104:105], v[106:107]
	v_mul_f64 v[106:107], v[40:41], s[2:3]
	v_fma_f64 v[100:101], v[60:61], s[14:15], -v[100:101]
	v_add_f64 v[92:93], v[92:93], v[112:113]
	v_fma_f64 v[112:113], v[46:47], s[14:15], -v[106:107]
	v_add_f64 v[100:101], v[100:101], v[108:109]
	v_fmac_f64_e32 v[106:107], s[14:15], v[46:47]
	v_mul_f64 v[108:109], v[58:59], s[12:13]
	v_add_f64 v[106:107], v[106:107], v[122:123]
	v_fma_f64 v[122:123], s[20:21], v[60:61], v[108:109]
	v_add_f64 v[54:55], v[122:123], v[54:55]
	v_mul_f64 v[122:123], v[40:41], s[12:13]
	v_add_f64 v[102:103], v[102:103], v[124:125]
	v_fma_f64 v[124:125], v[46:47], s[20:21], -v[122:123]
	v_fma_f64 v[108:109], v[60:61], s[20:21], -v[108:109]
	v_fmac_f64_e32 v[122:123], s[20:21], v[46:47]
	v_mul_f64 v[58:59], v[58:59], s[30:31]
	v_add_f64 v[52:53], v[108:109], v[52:53]
	v_add_f64 v[108:109], v[122:123], v[126:127]
	v_fma_f64 v[122:123], s[34:35], v[60:61], v[58:59]
	v_mul_f64 v[40:41], v[40:41], s[30:31]
	v_add_f64 v[110:111], v[122:123], v[110:111]
	v_fma_f64 v[122:123], v[46:47], s[34:35], -v[40:41]
	v_fmac_f64_e32 v[40:41], s[34:35], v[46:47]
	v_add_f64 v[30:31], v[40:41], v[30:31]
	v_mul_f64 v[40:41], v[38:39], s[12:13]
	v_fma_f64 v[46:47], s[20:21], v[56:57], v[40:41]
	v_fma_f64 v[58:59], v[60:61], s[34:35], -v[58:59]
	v_add_f64 v[46:47], v[46:47], v[48:49]
	v_mul_f64 v[48:49], v[36:37], s[12:13]
	v_add_f64 v[28:29], v[58:59], v[28:29]
	v_fma_f64 v[58:59], v[42:43], s[20:21], -v[48:49]
	v_fma_f64 v[40:41], v[56:57], s[20:21], -v[40:41]
	v_fmac_f64_e32 v[48:49], s[20:21], v[42:43]
	v_add_f64 v[40:41], v[40:41], v[44:45]
	v_add_f64 v[44:45], v[48:49], v[50:51]
	v_mul_f64 v[48:49], v[38:39], s[36:37]
	v_fma_f64 v[50:51], s[38:39], v[56:57], v[48:49]
	v_fma_f64 v[48:49], v[56:57], s[38:39], -v[48:49]
	v_add_f64 v[48:49], v[48:49], v[64:65]
	v_mul_f64 v[64:65], v[38:39], s[40:41]
	v_add_f64 v[50:51], v[50:51], v[66:67]
	v_mul_f64 v[60:61], v[36:37], s[36:37]
	v_fma_f64 v[66:67], s[24:25], v[56:57], v[64:65]
	v_fma_f64 v[64:65], v[56:57], s[24:25], -v[64:65]
	v_add_f64 v[58:59], v[58:59], v[62:63]
	v_fma_f64 v[62:63], v[42:43], s[38:39], -v[60:61]
	v_fmac_f64_e32 v[60:61], s[38:39], v[42:43]
	v_add_f64 v[64:65], v[64:65], v[78:79]
	v_mul_f64 v[78:79], v[38:39], s[46:47]
	v_add_f64 v[60:61], v[60:61], v[74:75]
	v_add_f64 v[66:67], v[66:67], v[80:81]
	v_mul_f64 v[74:75], v[36:37], s[40:41]
	v_fma_f64 v[80:81], s[14:15], v[56:57], v[78:79]
	v_fma_f64 v[78:79], v[56:57], s[14:15], -v[78:79]
	v_add_f64 v[62:63], v[62:63], v[76:77]
	v_fma_f64 v[76:77], v[42:43], s[24:25], -v[74:75]
	v_fmac_f64_e32 v[74:75], s[24:25], v[42:43]
	v_add_f64 v[78:79], v[78:79], v[86:87]
	v_mul_f64 v[86:87], v[38:39], s[10:11]
	v_add_f64 v[74:75], v[74:75], v[82:83]
	;; [unrolled: 10-line block ×3, first 2 shown]
	v_add_f64 v[88:89], v[88:89], v[96:97]
	v_mul_f64 v[90:91], v[36:37], s[10:11]
	v_fma_f64 v[96:97], s[34:35], v[56:57], v[94:95]
	v_fma_f64 v[94:95], v[56:57], s[34:35], -v[94:95]
	s_mov_b32 s53, 0x3fe9895b
	s_mov_b32 s52, s26
	v_add_f64 v[84:85], v[84:85], v[92:93]
	v_fma_f64 v[92:93], v[42:43], s[18:19], -v[90:91]
	v_fmac_f64_e32 v[90:91], s[18:19], v[42:43]
	v_add_f64 v[94:95], v[94:95], v[100:101]
	v_mul_f64 v[100:101], v[38:39], s[52:53]
	v_add_f64 v[90:91], v[90:91], v[98:99]
	v_add_f64 v[96:97], v[96:97], v[104:105]
	v_mul_f64 v[98:99], v[36:37], s[30:31]
	v_fma_f64 v[104:105], s[28:29], v[56:57], v[100:101]
	v_add_f64 v[92:93], v[92:93], v[102:103]
	v_fma_f64 v[102:103], v[42:43], s[34:35], -v[98:99]
	v_fmac_f64_e32 v[98:99], s[34:35], v[42:43]
	v_add_f64 v[54:55], v[104:105], v[54:55]
	v_mul_f64 v[104:105], v[36:37], s[52:53]
	v_add_f64 v[98:99], v[98:99], v[106:107]
	v_fma_f64 v[106:107], v[42:43], s[28:29], -v[104:105]
	v_fma_f64 v[100:101], v[56:57], s[28:29], -v[100:101]
	v_fmac_f64_e32 v[104:105], s[28:29], v[42:43]
	v_mul_f64 v[38:39], v[38:39], s[50:51]
	v_add_f64 v[52:53], v[100:101], v[52:53]
	v_add_f64 v[100:101], v[104:105], v[108:109]
	v_fma_f64 v[104:105], s[16:17], v[56:57], v[38:39]
	v_mul_f64 v[36:37], v[36:37], s[50:51]
	v_fma_f64 v[38:39], v[56:57], s[16:17], -v[38:39]
	v_fma_f64 v[108:109], v[42:43], s[16:17], -v[36:37]
	v_add_f64 v[28:29], v[38:39], v[28:29]
	v_fmac_f64_e32 v[36:37], s[16:17], v[42:43]
	v_add_f64 v[38:39], v[34:35], v[10:11]
	v_add_f64 v[10:11], v[10:11], -v[34:35]
	v_add_f64 v[30:31], v[36:37], v[30:31]
	v_add_f64 v[36:37], v[32:33], v[8:9]
	v_add_f64 v[8:9], v[8:9], -v[32:33]
	v_mul_f64 v[32:33], v[10:11], s[22:23]
	v_fma_f64 v[34:35], s[24:25], v[36:37], v[32:33]
	v_mul_f64 v[42:43], v[8:9], s[22:23]
	v_add_f64 v[34:35], v[34:35], v[46:47]
	v_fma_f64 v[46:47], v[38:39], s[24:25], -v[42:43]
	v_fma_f64 v[32:33], v[36:37], s[24:25], -v[32:33]
	v_fmac_f64_e32 v[42:43], s[24:25], v[38:39]
	v_add_f64 v[32:33], v[32:33], v[40:41]
	v_add_f64 v[40:41], v[42:43], v[44:45]
	v_mul_f64 v[42:43], v[10:11], s[42:43]
	v_fma_f64 v[44:45], s[34:35], v[36:37], v[42:43]
	v_add_f64 v[44:45], v[44:45], v[50:51]
	v_mul_f64 v[50:51], v[8:9], s[42:43]
	v_fma_f64 v[56:57], v[38:39], s[34:35], -v[50:51]
	v_fma_f64 v[42:43], v[36:37], s[34:35], -v[42:43]
	v_fmac_f64_e32 v[50:51], s[34:35], v[38:39]
	v_add_f64 v[42:43], v[42:43], v[48:49]
	v_add_f64 v[48:49], v[50:51], v[60:61]
	v_mul_f64 v[50:51], v[10:11], s[50:51]
	v_add_f64 v[46:47], v[46:47], v[58:59]
	v_fma_f64 v[58:59], s[16:17], v[36:37], v[50:51]
	v_fma_f64 v[50:51], v[36:37], s[16:17], -v[50:51]
	v_add_f64 v[50:51], v[50:51], v[64:65]
	v_mul_f64 v[64:65], v[10:11], s[10:11]
	v_add_f64 v[58:59], v[58:59], v[66:67]
	v_mul_f64 v[60:61], v[8:9], s[50:51]
	v_fma_f64 v[66:67], s[18:19], v[36:37], v[64:65]
	v_fma_f64 v[64:65], v[36:37], s[18:19], -v[64:65]
	v_add_f64 v[56:57], v[56:57], v[62:63]
	v_fma_f64 v[62:63], v[38:39], s[16:17], -v[60:61]
	v_fmac_f64_e32 v[60:61], s[16:17], v[38:39]
	v_add_f64 v[64:65], v[64:65], v[78:79]
	v_mul_f64 v[78:79], v[10:11], s[36:37]
	v_add_f64 v[60:61], v[60:61], v[74:75]
	v_add_f64 v[66:67], v[66:67], v[80:81]
	v_mul_f64 v[74:75], v[8:9], s[10:11]
	v_fma_f64 v[80:81], s[38:39], v[36:37], v[78:79]
	v_fma_f64 v[78:79], v[36:37], s[38:39], -v[78:79]
	s_mov_b32 s55, 0x3fefdd0d
	s_mov_b32 s54, s12
	v_add_f64 v[62:63], v[62:63], v[76:77]
	v_fma_f64 v[76:77], v[38:39], s[18:19], -v[74:75]
	v_fmac_f64_e32 v[74:75], s[18:19], v[38:39]
	v_add_f64 v[78:79], v[78:79], v[86:87]
	v_mul_f64 v[86:87], v[10:11], s[54:55]
	v_add_f64 v[74:75], v[74:75], v[82:83]
	v_add_f64 v[80:81], v[80:81], v[88:89]
	v_mul_f64 v[82:83], v[8:9], s[36:37]
	v_fma_f64 v[88:89], s[20:21], v[36:37], v[86:87]
	v_fma_f64 v[86:87], v[36:37], s[20:21], -v[86:87]
	v_add_f64 v[76:77], v[76:77], v[84:85]
	v_fma_f64 v[84:85], v[38:39], s[38:39], -v[82:83]
	v_fmac_f64_e32 v[82:83], s[38:39], v[38:39]
	v_add_f64 v[86:87], v[86:87], v[94:95]
	v_mul_f64 v[94:95], v[10:11], s[2:3]
	v_add_f64 v[82:83], v[82:83], v[90:91]
	v_add_f64 v[88:89], v[88:89], v[96:97]
	v_mul_f64 v[90:91], v[8:9], s[54:55]
	v_fma_f64 v[96:97], s[14:15], v[36:37], v[94:95]
	v_add_f64 v[84:85], v[84:85], v[92:93]
	v_fma_f64 v[92:93], v[38:39], s[20:21], -v[90:91]
	v_fmac_f64_e32 v[90:91], s[20:21], v[38:39]
	v_add_f64 v[54:55], v[96:97], v[54:55]
	v_mul_f64 v[96:97], v[8:9], s[2:3]
	v_add_f64 v[90:91], v[90:91], v[98:99]
	v_fma_f64 v[98:99], v[38:39], s[14:15], -v[96:97]
	v_fma_f64 v[94:95], v[36:37], s[14:15], -v[94:95]
	v_fmac_f64_e32 v[96:97], s[14:15], v[38:39]
	v_mul_f64 v[8:9], v[8:9], s[26:27]
	v_add_f64 v[52:53], v[94:95], v[52:53]
	v_add_f64 v[94:95], v[96:97], v[100:101]
	v_mul_f64 v[10:11], v[10:11], s[26:27]
	v_fma_f64 v[100:101], v[38:39], s[28:29], -v[8:9]
	v_fmac_f64_e32 v[8:9], s[28:29], v[38:39]
	v_fma_f64 v[96:97], s[28:29], v[36:37], v[10:11]
	v_fma_f64 v[10:11], v[36:37], s[28:29], -v[10:11]
	v_add_f64 v[8:9], v[8:9], v[30:31]
	v_add_f64 v[30:31], v[26:27], v[22:23]
	v_add_f64 v[22:23], v[22:23], -v[26:27]
	v_add_f64 v[10:11], v[10:11], v[28:29]
	v_add_f64 v[28:29], v[24:25], v[20:21]
	v_add_f64 v[20:21], v[20:21], -v[24:25]
	v_mul_f64 v[24:25], v[22:23], s[26:27]
	v_fma_f64 v[26:27], s[28:29], v[28:29], v[24:25]
	v_add_f64 v[26:27], v[26:27], v[34:35]
	v_mul_f64 v[34:35], v[20:21], s[26:27]
	v_fma_f64 v[36:37], v[30:31], s[28:29], -v[34:35]
	v_fma_f64 v[24:25], v[28:29], s[28:29], -v[24:25]
	v_fmac_f64_e32 v[34:35], s[28:29], v[30:31]
	v_add_f64 v[24:25], v[24:25], v[32:33]
	v_add_f64 v[32:33], v[34:35], v[40:41]
	v_mul_f64 v[34:35], v[22:23], s[40:41]
	v_fma_f64 v[38:39], s[24:25], v[28:29], v[34:35]
	v_fma_f64 v[34:35], v[28:29], s[24:25], -v[34:35]
	v_add_f64 v[34:35], v[34:35], v[42:43]
	v_mul_f64 v[42:43], v[22:23], s[2:3]
	v_add_f64 v[36:37], v[36:37], v[46:47]
	v_mul_f64 v[40:41], v[20:21], s[40:41]
	v_fma_f64 v[46:47], s[14:15], v[28:29], v[42:43]
	v_fma_f64 v[42:43], v[28:29], s[14:15], -v[42:43]
	v_add_f64 v[38:39], v[38:39], v[44:45]
	v_fma_f64 v[44:45], v[30:31], s[24:25], -v[40:41]
	v_fmac_f64_e32 v[40:41], s[24:25], v[30:31]
	v_add_f64 v[42:43], v[42:43], v[50:51]
	v_mul_f64 v[50:51], v[22:23], s[30:31]
	v_add_f64 v[40:41], v[40:41], v[48:49]
	v_add_f64 v[46:47], v[46:47], v[58:59]
	v_mul_f64 v[48:49], v[20:21], s[2:3]
	v_fma_f64 v[58:59], s[34:35], v[28:29], v[50:51]
	v_fma_f64 v[50:51], v[28:29], s[34:35], -v[50:51]
	v_add_f64 v[44:45], v[44:45], v[56:57]
	v_fma_f64 v[56:57], v[30:31], s[14:15], -v[48:49]
	v_fmac_f64_e32 v[48:49], s[14:15], v[30:31]
	v_add_f64 v[50:51], v[50:51], v[64:65]
	v_mul_f64 v[64:65], v[22:23], s[54:55]
	v_add_f64 v[48:49], v[48:49], v[60:61]
	;; [unrolled: 10-line block ×3, first 2 shown]
	v_add_f64 v[66:67], v[66:67], v[80:81]
	v_mul_f64 v[74:75], v[20:21], s[54:55]
	v_fma_f64 v[80:81], s[16:17], v[28:29], v[78:79]
	v_fma_f64 v[78:79], v[28:29], s[16:17], -v[78:79]
	v_add_f64 v[130:131], v[130:131], v[136:137]
	v_add_f64 v[62:63], v[62:63], v[76:77]
	v_fma_f64 v[76:77], v[30:31], s[20:21], -v[74:75]
	v_fmac_f64_e32 v[74:75], s[20:21], v[30:31]
	v_add_f64 v[78:79], v[78:79], v[86:87]
	v_mul_f64 v[86:87], v[22:23], s[36:37]
	v_add_f64 v[132:133], v[138:139], v[132:133]
	v_add_f64 v[112:113], v[112:113], v[128:129]
	;; [unrolled: 1-line block ×5, first 2 shown]
	v_mul_f64 v[82:83], v[20:21], s[6:7]
	v_fma_f64 v[88:89], s[38:39], v[28:29], v[86:87]
	v_add_f64 v[124:125], v[124:125], v[132:133]
	v_add_f64 v[102:103], v[102:103], v[112:113]
	v_add_f64 v[104:105], v[104:105], v[110:111]
	v_add_f64 v[108:109], v[108:109], v[122:123]
	v_add_f64 v[76:77], v[76:77], v[84:85]
	v_fma_f64 v[84:85], v[30:31], s[16:17], -v[82:83]
	v_fmac_f64_e32 v[82:83], s[16:17], v[30:31]
	v_add_f64 v[88:89], v[88:89], v[54:55]
	v_mul_f64 v[54:55], v[20:21], s[36:37]
	v_fma_f64 v[86:87], v[28:29], s[38:39], -v[86:87]
	v_mul_f64 v[22:23], v[22:23], s[44:45]
	v_add_f64 v[106:107], v[106:107], v[124:125]
	v_add_f64 v[92:93], v[92:93], v[102:103]
	;; [unrolled: 1-line block ×5, first 2 shown]
	v_fma_f64 v[90:91], v[30:31], s[38:39], -v[54:55]
	v_add_f64 v[86:87], v[86:87], v[52:53]
	v_fmac_f64_e32 v[54:55], s[38:39], v[30:31]
	v_fma_f64 v[52:53], s[18:19], v[28:29], v[22:23]
	v_mul_f64 v[20:21], v[20:21], s[44:45]
	v_add_f64 v[108:109], v[14:15], -v[18:19]
	v_add_f64 v[98:99], v[98:99], v[106:107]
	v_add_f64 v[84:85], v[84:85], v[92:93]
	;; [unrolled: 1-line block ×4, first 2 shown]
	v_fma_f64 v[52:53], v[30:31], s[18:19], -v[20:21]
	v_fmac_f64_e32 v[20:21], s[18:19], v[30:31]
	v_add_f64 v[102:103], v[16:17], v[12:13]
	v_add_f64 v[106:107], v[12:13], -v[16:17]
	v_mul_f64 v[12:13], v[108:109], s[30:31]
	v_add_f64 v[96:97], v[52:53], v[100:101]
	v_fma_f64 v[22:23], v[28:29], s[18:19], -v[22:23]
	v_add_f64 v[100:101], v[20:21], v[8:9]
	v_fma_f64 v[8:9], s[34:35], v[102:103], v[12:13]
	v_fma_f64 v[12:13], v[102:103], s[34:35], -v[12:13]
	v_mul_f64 v[28:29], v[108:109], s[12:13]
	v_add_f64 v[90:91], v[90:91], v[98:99]
	v_add_f64 v[98:99], v[22:23], v[10:11]
	;; [unrolled: 1-line block ×4, first 2 shown]
	v_mul_f64 v[20:21], v[108:109], s[44:45]
	v_mul_f64 v[22:23], v[106:107], s[44:45]
	v_fma_f64 v[24:25], s[20:21], v[102:103], v[28:29]
	v_mul_f64 v[14:15], v[106:107], s[30:31]
	v_fma_f64 v[16:17], s[18:19], v[102:103], v[20:21]
	v_fma_f64 v[18:19], v[104:105], s[18:19], -v[22:23]
	v_add_f64 v[24:25], v[24:25], v[46:47]
	v_fma_f64 v[28:29], v[102:103], s[20:21], -v[28:29]
	v_mul_f64 v[46:47], v[106:107], s[2:3]
	v_fma_f64 v[10:11], v[104:105], s[34:35], -v[14:15]
	v_add_f64 v[16:17], v[16:17], v[38:39]
	v_add_f64 v[18:19], v[18:19], v[44:45]
	v_fma_f64 v[20:21], v[102:103], s[18:19], -v[20:21]
	v_fmac_f64_e32 v[22:23], s[18:19], v[104:105]
	v_add_f64 v[28:29], v[28:29], v[42:43]
	v_mul_f64 v[38:39], v[106:107], s[52:53]
	v_mul_f64 v[44:45], v[108:109], s[2:3]
	v_fma_f64 v[42:43], v[104:105], s[14:15], -v[46:47]
	v_fmac_f64_e32 v[46:47], s[14:15], v[104:105]
	v_add_f64 v[10:11], v[10:11], v[36:37]
	v_fmac_f64_e32 v[14:15], s[34:35], v[104:105]
	v_add_f64 v[20:21], v[20:21], v[34:35]
	v_add_f64 v[22:23], v[22:23], v[40:41]
	v_mul_f64 v[36:37], v[108:109], s[52:53]
	v_fma_f64 v[34:35], v[104:105], s[28:29], -v[38:39]
	v_fma_f64 v[40:41], s[14:15], v[102:103], v[44:45]
	v_fma_f64 v[44:45], v[102:103], s[14:15], -v[44:45]
	v_add_f64 v[46:47], v[46:47], v[74:75]
	v_mul_f64 v[74:75], v[108:109], s[22:23]
	v_add_f64 v[14:15], v[14:15], v[32:33]
	v_fma_f64 v[32:33], s[28:29], v[102:103], v[36:37]
	v_add_f64 v[34:35], v[34:35], v[62:63]
	v_add_f64 v[42:43], v[42:43], v[76:77]
	;; [unrolled: 1-line block ×3, first 2 shown]
	v_mul_f64 v[62:63], v[106:107], s[50:51]
	v_fma_f64 v[64:65], s[24:25], v[102:103], v[74:75]
	v_mul_f64 v[76:77], v[106:107], s[22:23]
	v_fma_f64 v[74:75], v[102:103], s[24:25], -v[74:75]
	v_add_f64 v[32:33], v[32:33], v[58:59]
	v_add_f64 v[40:41], v[40:41], v[66:67]
	v_fma_f64 v[58:59], v[104:105], s[16:17], -v[62:63]
	v_fmac_f64_e32 v[62:63], s[16:17], v[104:105]
	v_fma_f64 v[66:67], v[104:105], s[24:25], -v[76:77]
	v_add_f64 v[74:75], v[74:75], v[98:99]
	v_add_f64 v[98:99], v[2:3], -v[6:7]
	v_add_f64 v[62:63], v[62:63], v[92:93]
	v_add_f64 v[66:67], v[66:67], v[96:97]
	;; [unrolled: 1-line block ×3, first 2 shown]
	v_add_f64 v[96:97], v[0:1], -v[4:5]
	v_mul_f64 v[0:1], v[98:99], s[36:37]
	v_add_f64 v[8:9], v[8:9], v[26:27]
	v_add_f64 v[64:65], v[64:65], v[94:95]
	v_fmac_f64_e32 v[76:77], s[24:25], v[104:105]
	v_add_f64 v[94:95], v[6:7], v[2:3]
	v_fma_f64 v[2:3], s[38:39], v[92:93], v[0:1]
	v_add_f64 v[76:77], v[76:77], v[100:101]
	v_add_f64 v[100:101], v[2:3], v[8:9]
	v_mul_f64 v[2:3], v[96:97], s[36:37]
	v_mul_f64 v[30:31], v[106:107], s[12:13]
	v_fma_f64 v[36:37], v[102:103], s[28:29], -v[36:37]
	v_fmac_f64_e32 v[38:39], s[28:29], v[104:105]
	v_mul_f64 v[54:55], v[106:107], s[36:37]
	v_fma_f64 v[4:5], v[94:95], s[38:39], -v[2:3]
	v_fma_f64 v[0:1], v[92:93], s[38:39], -v[0:1]
	v_fmac_f64_e32 v[2:3], s[38:39], v[94:95]
	v_fma_f64 v[26:27], v[104:105], s[20:21], -v[30:31]
	v_add_f64 v[36:37], v[36:37], v[50:51]
	v_add_f64 v[38:39], v[38:39], v[60:61]
	v_fma_f64 v[50:51], v[104:105], s[38:39], -v[54:55]
	v_fmac_f64_e32 v[54:55], s[38:39], v[104:105]
	v_mul_f64 v[60:61], v[108:109], s[50:51]
	v_add_f64 v[0:1], v[0:1], v[12:13]
	v_add_f64 v[12:13], v[2:3], v[14:15]
	v_mul_f64 v[2:3], v[98:99], s[46:47]
	v_add_f64 v[26:27], v[26:27], v[56:57]
	v_add_f64 v[54:55], v[54:55], v[82:83]
	v_fma_f64 v[56:57], s[16:17], v[102:103], v[60:61]
	v_add_f64 v[82:83], v[4:5], v[10:11]
	v_fma_f64 v[4:5], s[14:15], v[92:93], v[2:3]
	v_add_f64 v[56:57], v[56:57], v[88:89]
	v_add_f64 v[88:89], v[4:5], v[16:17]
	v_mul_f64 v[4:5], v[96:97], s[46:47]
	v_fmac_f64_e32 v[30:31], s[20:21], v[104:105]
	v_mul_f64 v[52:53], v[108:109], s[36:37]
	v_fma_f64 v[6:7], v[94:95], s[14:15], -v[4:5]
	v_fmac_f64_e32 v[4:5], s[14:15], v[94:95]
	v_add_f64 v[30:31], v[30:31], v[48:49]
	v_fma_f64 v[48:49], s[38:39], v[102:103], v[52:53]
	v_fma_f64 v[52:53], v[102:103], s[38:39], -v[52:53]
	v_add_f64 v[14:15], v[4:5], v[22:23]
	v_mul_f64 v[4:5], v[98:99], s[30:31]
	v_add_f64 v[52:53], v[52:53], v[78:79]
	v_add_f64 v[78:79], v[6:7], v[18:19]
	v_fma_f64 v[6:7], s[34:35], v[92:93], v[4:5]
	v_add_f64 v[58:59], v[58:59], v[90:91]
	v_add_f64 v[90:91], v[6:7], v[24:25]
	v_mul_f64 v[6:7], v[96:97], s[30:31]
	v_fma_f64 v[8:9], v[94:95], s[34:35], -v[6:7]
	v_fmac_f64_e32 v[6:7], s[34:35], v[94:95]
	v_add_f64 v[16:17], v[6:7], v[30:31]
	v_mul_f64 v[6:7], v[98:99], s[50:51]
	v_add_f64 v[48:49], v[48:49], v[80:81]
	v_add_f64 v[80:81], v[8:9], v[26:27]
	v_fma_f64 v[8:9], s[16:17], v[92:93], v[6:7]
	v_add_f64 v[50:51], v[50:51], v[84:85]
	v_add_f64 v[84:85], v[8:9], v[32:33]
	v_mul_f64 v[8:9], v[96:97], s[50:51]
	v_fma_f64 v[10:11], v[94:95], s[16:17], -v[8:9]
	v_fmac_f64_e32 v[8:9], s[16:17], v[94:95]
	v_add_f64 v[18:19], v[8:9], v[38:39]
	v_mul_f64 v[8:9], v[98:99], s[26:27]
	v_fma_f64 v[60:61], v[102:103], s[16:17], -v[60:61]
	v_add_f64 v[34:35], v[10:11], v[34:35]
	v_fma_f64 v[10:11], s[28:29], v[92:93], v[8:9]
	v_add_f64 v[60:61], v[60:61], v[86:87]
	v_fma_f64 v[2:3], v[92:93], s[14:15], -v[2:3]
	v_add_f64 v[86:87], v[10:11], v[40:41]
	v_mul_f64 v[10:11], v[96:97], s[26:27]
	v_add_f64 v[2:3], v[2:3], v[20:21]
	v_fma_f64 v[4:5], v[92:93], s[34:35], -v[4:5]
	v_fma_f64 v[6:7], v[92:93], s[16:17], -v[6:7]
	;; [unrolled: 1-line block ×3, first 2 shown]
	v_fmac_f64_e32 v[10:11], s[28:29], v[94:95]
	v_mul_f64 v[26:27], v[98:99], s[22:23]
	v_add_f64 v[4:5], v[4:5], v[28:29]
	v_add_f64 v[6:7], v[6:7], v[36:37]
	;; [unrolled: 1-line block ×4, first 2 shown]
	v_mul_f64 v[10:11], v[98:99], s[44:45]
	v_fma_f64 v[28:29], s[24:25], v[92:93], v[26:27]
	v_mul_f64 v[30:31], v[96:97], s[22:23]
	s_movk_i32 s0, 0x88
	v_fma_f64 v[8:9], v[92:93], s[28:29], -v[8:9]
	v_fma_f64 v[22:23], s[18:19], v[92:93], v[10:11]
	v_add_f64 v[46:47], v[28:29], v[56:57]
	v_fma_f64 v[28:29], v[94:95], s[24:25], -v[30:31]
	v_fma_f64 v[26:27], v[92:93], s[24:25], -v[26:27]
	v_fmac_f64_e32 v[30:31], s[24:25], v[94:95]
	v_mul_f64 v[32:33], v[98:99], s[54:55]
	v_mad_u32_u24 v126, v114, s0, 0
	v_lshlrev_b32_e32 v127, 7, v114
	v_add_f64 v[8:9], v[8:9], v[44:45]
	v_add_f64 v[44:45], v[22:23], v[48:49]
	v_mul_f64 v[22:23], v[96:97], s[44:45]
	v_fma_f64 v[10:11], v[92:93], s[18:19], -v[10:11]
	v_add_f64 v[38:39], v[26:27], v[60:61]
	v_add_f64 v[26:27], v[30:31], v[62:63]
	v_fma_f64 v[30:31], s[20:21], v[92:93], v[32:33]
	v_mul_f64 v[48:49], v[96:97], s[54:55]
	v_sub_u32_e32 v108, v126, v127
	v_fma_f64 v[24:25], v[94:95], s[18:19], -v[22:23]
	v_add_f64 v[10:11], v[10:11], v[52:53]
	v_fmac_f64_e32 v[22:23], s[18:19], v[94:95]
	v_add_f64 v[40:41], v[30:31], v[64:65]
	v_fma_f64 v[30:31], v[94:95], s[20:21], -v[48:49]
	v_fma_f64 v[32:33], v[92:93], s[20:21], -v[32:33]
	v_fmac_f64_e32 v[48:49], s[20:21], v[94:95]
	v_lshl_add_u32 v121, v120, 3, 0
	v_add_u32_e32 v109, 0x800, v108
	v_add_u32_e32 v112, 0xc00, v108
	;; [unrolled: 1-line block ×3, first 2 shown]
	s_movk_i32 s0, 0xf1
	v_add_f64 v[24:25], v[24:25], v[50:51]
	v_add_f64 v[22:23], v[22:23], v[54:55]
	;; [unrolled: 1-line block ×6, first 2 shown]
	ds_write2_b64 v126, v[72:73], v[100:101] offset1:1
	ds_write2_b64 v126, v[88:89], v[90:91] offset0:2 offset1:3
	ds_write2_b64 v126, v[84:85], v[86:87] offset0:4 offset1:5
	;; [unrolled: 1-line block ×7, first 2 shown]
	ds_write_b64 v126, v[0:1] offset:128
	s_waitcnt lgkmcnt(0)
	; wave barrier
	s_waitcnt lgkmcnt(0)
	v_lshl_add_u32 v122, v117, 3, 0
	v_lshl_add_u32 v124, v118, 3, 0
	;; [unrolled: 1-line block ×3, first 2 shown]
	ds_read_b64 v[54:55], v121
	ds_read_b64 v[52:53], v122
	;; [unrolled: 1-line block ×4, first 2 shown]
	v_lshl_add_u32 v123, v115, 3, 0
	ds_read_b64 v[92:93], v108 offset:6528
	ds_read_b64 v[90:91], v108
	ds_read_b64 v[94:95], v123
	ds_read2_b64 v[48:51], v109 offset0:50 offset1:101
	ds_read2_b64 v[44:47], v109 offset0:152 offset1:203
	;; [unrolled: 1-line block ×5, first 2 shown]
	s_waitcnt lgkmcnt(0)
	; wave barrier
	s_waitcnt lgkmcnt(0)
	ds_write2_b64 v126, v[70:71], v[82:83] offset1:1
	ds_write2_b64 v126, v[78:79], v[80:81] offset0:2 offset1:3
	ds_write2_b64 v126, v[34:35], v[36:37] offset0:4 offset1:5
	;; [unrolled: 1-line block ×7, first 2 shown]
	ds_write_b64 v126, v[12:13] offset:128
	v_mul_lo_u16_sdwa v12, v114, s0 dst_sel:DWORD dst_unused:UNUSED_PAD src0_sel:BYTE_0 src1_sel:DWORD
	v_lshrrev_b16_e32 v128, 12, v12
	v_mul_lo_u16_e32 v12, 17, v128
	v_sub_u16_e32 v129, v114, v12
	v_mov_b32_e32 v12, 8
	v_lshlrev_b32_sdwa v28, v12, v129 dst_sel:DWORD dst_unused:UNUSED_PAD src0_sel:DWORD src1_sel:BYTE_0
	s_waitcnt lgkmcnt(0)
	; wave barrier
	s_waitcnt lgkmcnt(0)
	global_load_dwordx4 v[56:59], v28, s[4:5] offset:80
	global_load_dwordx4 v[60:63], v28, s[4:5] offset:96
	;; [unrolled: 1-line block ×4, first 2 shown]
	global_load_dwordx4 v[96:99], v28, s[4:5]
	global_load_dwordx4 v[100:103], v28, s[4:5] offset:16
	global_load_dwordx4 v[104:107], v28, s[4:5] offset:32
	;; [unrolled: 1-line block ×10, first 2 shown]
	s_nop 0
	global_load_dwordx4 v[28:31], v28, s[4:5] offset:240
	ds_read2_b64 v[64:67], v109 offset0:50 offset1:101
	ds_read2_b64 v[86:89], v109 offset0:152 offset1:203
	v_cmp_gt_u32_e64 s[0:1], 34, v114
	s_waitcnt vmcnt(15) lgkmcnt(1)
	v_mul_f64 v[70:71], v[64:65], v[58:59]
	v_fmac_f64_e32 v[70:71], v[48:49], v[56:57]
	v_mul_f64 v[48:49], v[48:49], v[58:59]
	v_fma_f64 v[72:73], v[64:65], v[56:57], -v[48:49]
	s_waitcnt vmcnt(14)
	v_mul_f64 v[64:65], v[66:67], v[62:63]
	v_mul_f64 v[48:49], v[50:51], v[62:63]
	s_waitcnt vmcnt(13) lgkmcnt(0)
	v_mul_f64 v[56:57], v[86:87], v[80:81]
	v_fmac_f64_e32 v[64:65], v[50:51], v[60:61]
	v_fma_f64 v[66:67], v[66:67], v[60:61], -v[48:49]
	v_fmac_f64_e32 v[56:57], v[44:45], v[78:79]
	v_mul_f64 v[44:45], v[44:45], v[80:81]
	s_waitcnt vmcnt(12)
	v_mul_f64 v[60:61], v[88:89], v[84:85]
	v_fma_f64 v[58:59], v[86:87], v[78:79], -v[44:45]
	v_fmac_f64_e32 v[60:61], v[46:47], v[82:83]
	v_mul_f64 v[44:45], v[46:47], v[84:85]
	ds_read_b64 v[46:47], v121
	v_fma_f64 v[62:63], v[88:89], v[82:83], -v[44:45]
	ds_read_b64 v[44:45], v122
	ds_read_b64 v[48:49], v124
	;; [unrolled: 1-line block ×3, first 2 shown]
	s_waitcnt vmcnt(11)
	v_mul_f64 v[50:51], v[54:55], v[98:99]
	s_waitcnt lgkmcnt(3)
	v_mul_f64 v[86:87], v[46:47], v[98:99]
	v_fma_f64 v[88:89], v[46:47], v[96:97], -v[50:51]
	s_waitcnt vmcnt(10)
	v_mul_f64 v[46:47], v[52:53], v[102:103]
	s_waitcnt lgkmcnt(2)
	v_mul_f64 v[82:83], v[44:45], v[102:103]
	v_fma_f64 v[84:85], v[44:45], v[100:101], -v[46:47]
	;; [unrolled: 5-line block ×3, first 2 shown]
	ds_read2_b64 v[48:51], v113 offset0:100 offset1:151
	v_fmac_f64_e32 v[78:79], v[74:75], v[104:105]
	s_waitcnt vmcnt(8) lgkmcnt(1)
	v_mul_f64 v[74:75], v[110:111], v[132:133]
	v_mul_f64 v[44:45], v[76:77], v[132:133]
	v_fmac_f64_e32 v[86:87], v[54:55], v[96:97]
	ds_read_b64 v[96:97], v123
	v_fmac_f64_e32 v[82:83], v[52:53], v[100:101]
	ds_read2_b64 v[52:55], v112 offset0:126 offset1:177
	v_fmac_f64_e32 v[74:75], v[76:77], v[130:131]
	v_fma_f64 v[76:77], v[110:111], v[130:131], -v[44:45]
	ds_read2_b64 v[44:47], v113 offset0:202 offset1:253
	ds_read_b64 v[106:107], v108 offset:6528
	ds_read_b64 v[110:111], v108
	s_waitcnt vmcnt(4) lgkmcnt(5)
	v_mul_f64 v[102:103], v[48:49], v[14:15]
	v_fmac_f64_e32 v[102:103], v[4:5], v[12:13]
	v_mul_f64 v[4:5], v[4:5], v[14:15]
	v_fma_f64 v[48:49], v[48:49], v[12:13], -v[4:5]
	s_waitcnt vmcnt(3)
	v_mul_f64 v[104:105], v[50:51], v[42:43]
	v_mul_f64 v[4:5], v[6:7], v[42:43]
	s_waitcnt vmcnt(2) lgkmcnt(2)
	v_mul_f64 v[42:43], v[44:45], v[38:39]
	v_fmac_f64_e32 v[42:43], v[0:1], v[36:37]
	v_mul_f64 v[0:1], v[0:1], v[38:39]
	v_mul_f64 v[98:99], v[96:97], v[26:27]
	;; [unrolled: 1-line block ×3, first 2 shown]
	v_fma_f64 v[36:37], v[44:45], v[36:37], -v[0:1]
	s_waitcnt vmcnt(1)
	v_mul_f64 v[38:39], v[46:47], v[34:35]
	v_mul_f64 v[0:1], v[2:3], v[34:35]
	v_fmac_f64_e32 v[98:99], v[94:95], v[24:25]
	v_fma_f64 v[100:101], v[96:97], v[24:25], -v[26:27]
	v_mul_f64 v[24:25], v[52:53], v[22:23]
	v_fmac_f64_e32 v[38:39], v[2:3], v[32:33]
	v_fma_f64 v[2:3], v[46:47], v[32:33], -v[0:1]
	s_waitcnt vmcnt(0) lgkmcnt(1)
	v_mul_f64 v[32:33], v[106:107], v[30:31]
	v_mul_f64 v[0:1], v[92:93], v[30:31]
	v_fmac_f64_e32 v[24:25], v[8:9], v[20:21]
	v_mul_f64 v[8:9], v[8:9], v[22:23]
	v_fmac_f64_e32 v[32:33], v[92:93], v[28:29]
	v_fma_f64 v[28:29], v[106:107], v[28:29], -v[0:1]
	v_fma_f64 v[26:27], v[52:53], v[20:21], -v[8:9]
	v_add_f64 v[20:21], v[88:89], -v[28:29]
	v_mul_f64 v[94:95], v[54:55], v[18:19]
	v_mul_f64 v[8:9], v[10:11], v[18:19]
	v_add_f64 v[18:19], v[86:87], v[32:33]
	v_mul_f64 v[22:23], v[20:21], s[2:3]
	v_add_f64 v[44:45], v[84:85], -v[2:3]
	v_fmac_f64_e32 v[104:105], v[6:7], v[40:41]
	v_fma_f64 v[40:41], v[50:51], v[40:41], -v[4:5]
	v_fma_f64 v[0:1], s[14:15], v[18:19], v[22:23]
	v_add_f64 v[30:31], v[82:83], v[38:39]
	v_mul_f64 v[46:47], v[44:45], s[6:7]
	v_add_f64 v[52:53], v[80:81], -v[36:37]
	v_fma_f64 v[96:97], v[54:55], v[16:17], -v[8:9]
	v_add_f64 v[0:1], v[90:91], v[0:1]
	v_fma_f64 v[4:5], s[16:17], v[30:31], v[46:47]
	v_add_f64 v[50:51], v[78:79], v[42:43]
	v_mul_f64 v[54:55], v[52:53], s[10:11]
	v_add_f64 v[106:107], v[76:77], -v[40:41]
	v_add_f64 v[0:1], v[4:5], v[0:1]
	v_fma_f64 v[4:5], s[18:19], v[50:51], v[54:55]
	v_add_f64 v[92:93], v[74:75], v[104:105]
	v_mul_f64 v[130:131], v[106:107], s[12:13]
	v_add_f64 v[134:135], v[100:101], -v[48:49]
	v_fmac_f64_e32 v[94:95], v[10:11], v[16:17]
	v_add_f64 v[0:1], v[4:5], v[0:1]
	v_fma_f64 v[4:5], s[20:21], v[92:93], v[130:131]
	v_add_f64 v[132:133], v[98:99], v[102:103]
	v_mul_f64 v[136:137], v[134:135], s[22:23]
	v_add_f64 v[14:15], v[72:73], -v[96:97]
	v_add_f64 v[0:1], v[4:5], v[0:1]
	v_fma_f64 v[4:5], s[24:25], v[132:133], v[136:137]
	v_add_f64 v[12:13], v[70:71], v[94:95]
	v_mul_f64 v[138:139], v[14:15], s[26:27]
	v_add_f64 v[8:9], v[66:67], -v[26:27]
	v_add_f64 v[0:1], v[4:5], v[0:1]
	v_fma_f64 v[4:5], s[28:29], v[12:13], v[138:139]
	v_add_f64 v[6:7], v[64:65], v[24:25]
	v_mul_f64 v[16:17], v[8:9], s[30:31]
	v_add_f64 v[0:1], v[4:5], v[0:1]
	v_fma_f64 v[4:5], s[34:35], v[6:7], v[16:17]
	v_add_f64 v[34:35], v[4:5], v[0:1]
	v_add_f64 v[4:5], v[58:59], -v[62:63]
	v_add_f64 v[0:1], v[56:57], v[60:61]
	v_mul_f64 v[10:11], v[4:5], s[36:37]
	v_fma_f64 v[140:141], s[38:39], v[0:1], v[10:11]
	v_add_f64 v[140:141], v[140:141], v[34:35]
	v_mov_b32_e32 v34, 3
	v_lshlrev_b32_sdwa v34, v34, v129 dst_sel:DWORD dst_unused:UNUSED_PAD src0_sel:DWORD src1_sel:BYTE_0
	v_mul_u32_u24_e32 v35, 0x908, v128
	v_add_f64 v[128:129], v[90:91], v[86:87]
	v_add_f64 v[128:129], v[128:129], v[82:83]
	;; [unrolled: 1-line block ×15, first 2 shown]
	v_add3_u32 v34, 0, v35, v34
	v_add_f64 v[128:129], v[128:129], v[32:33]
	s_waitcnt lgkmcnt(0)
	; wave barrier
	s_waitcnt lgkmcnt(0)
	ds_write2_b64 v34, v[128:129], v[140:141] offset1:17
	v_fma_f64 v[22:23], v[18:19], s[14:15], -v[22:23]
	v_mul_f64 v[128:129], v[20:21], s[6:7]
	v_mul_f64 v[142:143], v[20:21], s[10:11]
	;; [unrolled: 1-line block ×7, first 2 shown]
	v_fma_f64 v[140:141], s[16:17], v[18:19], v[128:129]
	v_fma_f64 v[128:129], v[18:19], s[16:17], -v[128:129]
	v_fma_f64 v[144:145], s[18:19], v[18:19], v[142:143]
	v_fma_f64 v[142:143], v[18:19], s[18:19], -v[142:143]
	v_fma_f64 v[148:149], s[20:21], v[18:19], v[146:147]
	v_fma_f64 v[146:147], v[18:19], s[20:21], -v[146:147]
	v_fma_f64 v[152:153], s[24:25], v[18:19], v[150:151]
	v_fma_f64 v[150:151], v[18:19], s[24:25], -v[150:151]
	v_fma_f64 v[156:157], s[28:29], v[18:19], v[154:155]
	v_fma_f64 v[154:155], v[18:19], s[28:29], -v[154:155]
	v_fma_f64 v[160:161], s[34:35], v[18:19], v[158:159]
	v_fma_f64 v[158:159], v[18:19], s[34:35], -v[158:159]
	v_fma_f64 v[162:163], s[38:39], v[18:19], v[20:21]
	v_fma_f64 v[18:19], v[18:19], s[38:39], -v[20:21]
	v_add_f64 v[20:21], v[90:91], v[22:23]
	v_fma_f64 v[46:47], v[30:31], s[16:17], -v[46:47]
	v_add_f64 v[20:21], v[46:47], v[20:21]
	v_mul_f64 v[46:47], v[44:45], s[12:13]
	v_add_f64 v[22:23], v[90:91], v[140:141]
	v_add_f64 v[128:129], v[90:91], v[128:129]
	;; [unrolled: 1-line block ×14, first 2 shown]
	v_fma_f64 v[90:91], s[20:21], v[30:31], v[46:47]
	v_add_f64 v[22:23], v[90:91], v[22:23]
	v_fma_f64 v[46:47], v[30:31], s[20:21], -v[46:47]
	v_mul_f64 v[90:91], v[44:45], s[26:27]
	v_add_f64 v[46:47], v[46:47], v[128:129]
	v_fma_f64 v[128:129], s[28:29], v[30:31], v[90:91]
	v_add_f64 v[128:129], v[128:129], v[140:141]
	v_fma_f64 v[90:91], v[30:31], s[28:29], -v[90:91]
	v_mul_f64 v[140:141], v[44:45], s[36:37]
	v_add_f64 v[90:91], v[90:91], v[142:143]
	;; [unrolled: 5-line block ×5, first 2 shown]
	v_fma_f64 v[154:155], s[18:19], v[30:31], v[152:153]
	v_mul_f64 v[44:45], v[44:45], s[46:47]
	v_add_f64 v[154:155], v[154:155], v[156:157]
	v_fma_f64 v[152:153], v[30:31], s[18:19], -v[152:153]
	v_fma_f64 v[156:157], s[14:15], v[30:31], v[44:45]
	v_fma_f64 v[30:31], v[30:31], s[14:15], -v[44:45]
	v_add_f64 v[18:19], v[30:31], v[18:19]
	v_fma_f64 v[30:31], v[50:51], s[18:19], -v[54:55]
	v_add_f64 v[20:21], v[30:31], v[20:21]
	v_mul_f64 v[30:31], v[52:53], s[26:27]
	v_fma_f64 v[44:45], s[28:29], v[50:51], v[30:31]
	v_add_f64 v[22:23], v[44:45], v[22:23]
	v_fma_f64 v[30:31], v[50:51], s[28:29], -v[30:31]
	v_mul_f64 v[44:45], v[52:53], s[48:49]
	v_add_f64 v[30:31], v[30:31], v[46:47]
	v_fma_f64 v[46:47], s[38:39], v[50:51], v[44:45]
	v_fma_f64 v[44:45], v[50:51], s[38:39], -v[44:45]
	v_mul_f64 v[54:55], v[52:53], s[40:41]
	v_add_f64 v[46:47], v[46:47], v[128:129]
	v_add_f64 v[44:45], v[44:45], v[90:91]
	v_fma_f64 v[90:91], s[24:25], v[50:51], v[54:55]
	v_fma_f64 v[54:55], v[50:51], s[24:25], -v[54:55]
	v_mul_f64 v[128:129], v[52:53], s[50:51]
	v_add_f64 v[90:91], v[90:91], v[142:143]
	v_add_f64 v[54:55], v[54:55], v[140:141]
	v_fma_f64 v[140:141], s[16:17], v[50:51], v[128:129]
	v_fma_f64 v[128:129], v[50:51], s[16:17], -v[128:129]
	v_mul_f64 v[142:143], v[52:53], s[2:3]
	v_add_f64 v[140:141], v[140:141], v[146:147]
	v_add_f64 v[128:129], v[128:129], v[144:145]
	v_fma_f64 v[144:145], s[14:15], v[50:51], v[142:143]
	v_fma_f64 v[142:143], v[50:51], s[14:15], -v[142:143]
	v_mul_f64 v[146:147], v[52:53], s[12:13]
	v_mul_f64 v[52:53], v[52:53], s[30:31]
	v_add_f64 v[144:145], v[144:145], v[150:151]
	v_add_f64 v[142:143], v[142:143], v[148:149]
	v_fma_f64 v[148:149], s[20:21], v[50:51], v[146:147]
	v_fma_f64 v[146:147], v[50:51], s[20:21], -v[146:147]
	v_fma_f64 v[150:151], s[34:35], v[50:51], v[52:53]
	v_fma_f64 v[50:51], v[50:51], s[34:35], -v[52:53]
	v_add_f64 v[18:19], v[50:51], v[18:19]
	v_fma_f64 v[50:51], v[92:93], s[20:21], -v[130:131]
	v_add_f64 v[20:21], v[50:51], v[20:21]
	v_mul_f64 v[50:51], v[106:107], s[36:37]
	v_fma_f64 v[52:53], s[38:39], v[92:93], v[50:51]
	v_fma_f64 v[50:51], v[92:93], s[38:39], -v[50:51]
	v_add_f64 v[30:31], v[50:51], v[30:31]
	v_mul_f64 v[50:51], v[106:107], s[40:41]
	v_add_f64 v[22:23], v[52:53], v[22:23]
	v_fma_f64 v[52:53], s[24:25], v[92:93], v[50:51]
	v_fma_f64 v[50:51], v[92:93], s[24:25], -v[50:51]
	v_add_f64 v[44:45], v[50:51], v[44:45]
	v_mul_f64 v[50:51], v[106:107], s[46:47]
	v_add_f64 v[46:47], v[52:53], v[46:47]
	;; [unrolled: 5-line block ×4, first 2 shown]
	v_fma_f64 v[130:131], s[34:35], v[92:93], v[128:129]
	v_fma_f64 v[128:129], v[92:93], s[34:35], -v[128:129]
	v_mul_f64 v[140:141], v[106:107], s[52:53]
	v_mul_f64 v[106:107], v[106:107], s[50:51]
	v_add_f64 v[130:131], v[130:131], v[144:145]
	v_add_f64 v[128:129], v[128:129], v[142:143]
	v_fma_f64 v[142:143], s[28:29], v[92:93], v[140:141]
	v_fma_f64 v[140:141], v[92:93], s[28:29], -v[140:141]
	v_fma_f64 v[144:145], s[16:17], v[92:93], v[106:107]
	v_fma_f64 v[92:93], v[92:93], s[16:17], -v[106:107]
	v_add_f64 v[18:19], v[92:93], v[18:19]
	v_fma_f64 v[92:93], v[132:133], s[24:25], -v[136:137]
	v_add_f64 v[20:21], v[92:93], v[20:21]
	v_mul_f64 v[92:93], v[134:135], s[42:43]
	v_fma_f64 v[106:107], s[34:35], v[132:133], v[92:93]
	v_fma_f64 v[92:93], v[132:133], s[34:35], -v[92:93]
	v_add_f64 v[30:31], v[92:93], v[30:31]
	v_mul_f64 v[92:93], v[134:135], s[50:51]
	v_add_f64 v[22:23], v[106:107], v[22:23]
	v_fma_f64 v[106:107], s[16:17], v[132:133], v[92:93]
	v_fma_f64 v[92:93], v[132:133], s[16:17], -v[92:93]
	v_add_f64 v[44:45], v[92:93], v[44:45]
	v_mul_f64 v[92:93], v[134:135], s[10:11]
	v_add_f64 v[46:47], v[106:107], v[46:47]
	;; [unrolled: 5-line block ×4, first 2 shown]
	v_fma_f64 v[106:107], s[20:21], v[132:133], v[92:93]
	v_fma_f64 v[92:93], v[132:133], s[20:21], -v[92:93]
	v_add_f64 v[92:93], v[92:93], v[128:129]
	v_mul_f64 v[128:129], v[134:135], s[2:3]
	v_mul_f64 v[134:135], v[134:135], s[26:27]
	v_add_f64 v[106:107], v[106:107], v[130:131]
	v_fma_f64 v[130:131], s[14:15], v[132:133], v[128:129]
	v_fma_f64 v[128:129], v[132:133], s[14:15], -v[128:129]
	v_fma_f64 v[136:137], s[28:29], v[132:133], v[134:135]
	v_fma_f64 v[132:133], v[132:133], s[28:29], -v[134:135]
	v_add_f64 v[18:19], v[132:133], v[18:19]
	v_fma_f64 v[132:133], v[12:13], s[28:29], -v[138:139]
	v_add_f64 v[20:21], v[132:133], v[20:21]
	v_mul_f64 v[132:133], v[14:15], s[40:41]
	v_fma_f64 v[134:135], s[24:25], v[12:13], v[132:133]
	v_fma_f64 v[132:133], v[12:13], s[24:25], -v[132:133]
	v_add_f64 v[30:31], v[132:133], v[30:31]
	v_mul_f64 v[132:133], v[14:15], s[2:3]
	v_add_f64 v[22:23], v[134:135], v[22:23]
	v_fma_f64 v[134:135], s[14:15], v[12:13], v[132:133]
	v_fma_f64 v[132:133], v[12:13], s[14:15], -v[132:133]
	v_add_f64 v[44:45], v[132:133], v[44:45]
	v_mul_f64 v[132:133], v[14:15], s[30:31]
	v_add_f64 v[46:47], v[134:135], v[46:47]
	;; [unrolled: 5-line block ×3, first 2 shown]
	v_fma_f64 v[134:135], s[20:21], v[12:13], v[132:133]
	v_fma_f64 v[132:133], v[12:13], s[20:21], -v[132:133]
	v_add_f64 v[152:153], v[152:153], v[158:159]
	v_add_f64 v[54:55], v[132:133], v[54:55]
	v_mul_f64 v[132:133], v[14:15], s[6:7]
	v_add_f64 v[146:147], v[146:147], v[152:153]
	v_add_f64 v[90:91], v[134:135], v[90:91]
	v_fma_f64 v[134:135], s[16:17], v[12:13], v[132:133]
	v_fma_f64 v[132:133], v[12:13], s[16:17], -v[132:133]
	v_add_f64 v[140:141], v[140:141], v[146:147]
	v_add_f64 v[92:93], v[132:133], v[92:93]
	v_mul_f64 v[132:133], v[14:15], s[36:37]
	v_add_f64 v[128:129], v[128:129], v[140:141]
	v_add_f64 v[106:107], v[134:135], v[106:107]
	v_fma_f64 v[134:135], s[38:39], v[12:13], v[132:133]
	v_fma_f64 v[132:133], v[12:13], s[38:39], -v[132:133]
	v_mul_f64 v[14:15], v[14:15], s[44:45]
	v_add_f64 v[128:129], v[132:133], v[128:129]
	v_fma_f64 v[132:133], s[18:19], v[12:13], v[14:15]
	v_fma_f64 v[12:13], v[12:13], s[18:19], -v[14:15]
	v_fma_f64 v[14:15], v[6:7], s[34:35], -v[16:17]
	v_mul_f64 v[16:17], v[8:9], s[44:45]
	v_add_f64 v[12:13], v[12:13], v[18:19]
	v_add_f64 v[14:15], v[14:15], v[20:21]
	v_fma_f64 v[18:19], s[18:19], v[6:7], v[16:17]
	v_fma_f64 v[16:17], v[6:7], s[18:19], -v[16:17]
	v_mul_f64 v[20:21], v[8:9], s[12:13]
	v_add_f64 v[18:19], v[18:19], v[22:23]
	v_add_f64 v[16:17], v[16:17], v[30:31]
	v_fma_f64 v[22:23], s[20:21], v[6:7], v[20:21]
	;; [unrolled: 5-line block ×5, first 2 shown]
	v_fma_f64 v[52:53], v[6:7], s[38:39], -v[52:53]
	v_add_f64 v[150:151], v[150:151], v[156:157]
	v_add_f64 v[50:51], v[50:51], v[90:91]
	;; [unrolled: 1-line block ×3, first 2 shown]
	v_mul_f64 v[52:53], v[8:9], s[50:51]
	v_add_f64 v[144:145], v[144:145], v[150:151]
	v_fma_f64 v[92:93], s[16:17], v[6:7], v[52:53]
	v_fma_f64 v[52:53], v[6:7], s[16:17], -v[52:53]
	v_mul_f64 v[8:9], v[8:9], s[22:23]
	v_add_f64 v[136:137], v[136:137], v[144:145]
	v_add_f64 v[54:55], v[54:55], v[106:107]
	;; [unrolled: 1-line block ×3, first 2 shown]
	v_fma_f64 v[52:53], s[24:25], v[6:7], v[8:9]
	v_fma_f64 v[6:7], v[6:7], s[24:25], -v[8:9]
	v_add_f64 v[132:133], v[132:133], v[136:137]
	v_add_f64 v[12:13], v[6:7], v[12:13]
	v_fma_f64 v[6:7], v[0:1], s[38:39], -v[10:11]
	v_add_f64 v[128:129], v[52:53], v[132:133]
	v_add_f64 v[52:53], v[6:7], v[14:15]
	v_mul_f64 v[14:15], v[4:5], s[46:47]
	v_fma_f64 v[6:7], s[14:15], v[0:1], v[14:15]
	v_add_f64 v[18:19], v[6:7], v[18:19]
	v_mul_f64 v[6:7], v[4:5], s[30:31]
	v_fma_f64 v[8:9], s[34:35], v[0:1], v[6:7]
	v_add_f64 v[22:23], v[8:9], v[22:23]
	v_mul_f64 v[8:9], v[4:5], s[50:51]
	v_add_f64 v[148:149], v[148:149], v[154:155]
	v_fma_f64 v[6:7], v[0:1], s[34:35], -v[6:7]
	v_fma_f64 v[10:11], s[16:17], v[0:1], v[8:9]
	v_add_f64 v[142:143], v[142:143], v[148:149]
	v_add_f64 v[6:7], v[6:7], v[20:21]
	;; [unrolled: 1-line block ×3, first 2 shown]
	v_fma_f64 v[8:9], v[0:1], s[16:17], -v[8:9]
	v_mul_f64 v[10:11], v[4:5], s[26:27]
	v_add_f64 v[130:131], v[130:131], v[142:143]
	v_add_f64 v[8:9], v[8:9], v[30:31]
	v_fma_f64 v[30:31], s[28:29], v[0:1], v[10:11]
	v_fma_f64 v[10:11], v[0:1], s[28:29], -v[10:11]
	v_mul_f64 v[44:45], v[4:5], s[44:45]
	v_add_f64 v[130:131], v[134:135], v[130:131]
	v_add_f64 v[30:31], v[30:31], v[50:51]
	;; [unrolled: 1-line block ×3, first 2 shown]
	v_fma_f64 v[46:47], s[18:19], v[0:1], v[44:45]
	v_fma_f64 v[44:45], v[0:1], s[18:19], -v[44:45]
	v_mul_f64 v[50:51], v[4:5], s[22:23]
	v_mul_f64 v[4:5], v[4:5], s[54:55]
	v_add_f64 v[92:93], v[92:93], v[130:131]
	v_add_f64 v[46:47], v[46:47], v[54:55]
	v_add_f64 v[44:45], v[44:45], v[90:91]
	v_fma_f64 v[54:55], s[24:25], v[0:1], v[50:51]
	v_fma_f64 v[50:51], v[0:1], s[24:25], -v[50:51]
	v_fma_f64 v[90:91], s[20:21], v[0:1], v[4:5]
	v_fma_f64 v[14:15], v[0:1], s[14:15], -v[14:15]
	v_fma_f64 v[0:1], v[0:1], s[20:21], -v[4:5]
	v_add_f64 v[54:55], v[54:55], v[92:93]
	v_add_f64 v[50:51], v[50:51], v[106:107]
	;; [unrolled: 1-line block ×5, first 2 shown]
	ds_write2_b64 v34, v[18:19], v[22:23] offset0:34 offset1:51
	ds_write2_b64 v34, v[20:21], v[30:31] offset0:68 offset1:85
	ds_write2_b64 v34, v[46:47], v[54:55] offset0:102 offset1:119
	ds_write2_b64 v34, v[90:91], v[4:5] offset0:136 offset1:153
	ds_write2_b64 v34, v[50:51], v[44:45] offset0:170 offset1:187
	ds_write2_b64 v34, v[10:11], v[8:9] offset0:204 offset1:221
	ds_write2_b64 v34, v[6:7], v[0:1] offset0:238 offset1:255
	ds_write_b64 v34, v[52:53] offset:2176
	v_add_u32_e32 v20, 0x1400, v108
	s_waitcnt lgkmcnt(0)
	; wave barrier
	s_waitcnt lgkmcnt(0)
	ds_read_b64 v[90:91], v108
	ds_read2_b64 v[8:11], v109 offset0:33 offset1:84
	ds_read2_b64 v[4:7], v112 offset0:109 offset1:194
	;; [unrolled: 1-line block ×5, first 2 shown]
	ds_read_b64 v[92:93], v121
	ds_read_b64 v[106:107], v122
	;; [unrolled: 1-line block ×4, first 2 shown]
	v_sub_u32_e32 v30, 0, v127
	v_add_u32_e32 v44, v126, v30
                                        ; implicit-def: $vgpr54_vgpr55
	s_and_saveexec_b64 s[56:57], s[0:1]
	s_cbranch_execz .LBB0_15
; %bb.14:
	ds_read_b64 v[0:1], v123
	ds_read_b64 v[52:53], v44 offset:4352
	ds_read_b64 v[54:55], v44 offset:6664
.LBB0_15:
	s_or_b64 exec, exec, s[56:57]
	v_add_f64 v[30:31], v[110:111], v[88:89]
	v_add_f64 v[30:31], v[30:31], v[84:85]
	;; [unrolled: 1-line block ×17, first 2 shown]
	v_add_f64 v[32:33], v[86:87], -v[32:33]
	v_mul_f64 v[46:47], v[28:29], s[14:15]
	v_mul_f64 v[86:87], v[28:29], s[16:17]
	;; [unrolled: 1-line block ×8, first 2 shown]
	v_add_f64 v[2:3], v[84:85], v[2:3]
	v_fma_f64 v[50:51], s[46:47], v[32:33], v[46:47]
	v_fmac_f64_e32 v[46:47], s[2:3], v[32:33]
	v_fma_f64 v[88:89], s[50:51], v[32:33], v[86:87]
	v_fmac_f64_e32 v[86:87], s[6:7], v[32:33]
	;; [unrolled: 2-line block ×8, first 2 shown]
	v_add_f64 v[32:33], v[82:83], -v[38:39]
	v_mul_f64 v[38:39], v[2:3], s[16:17]
	v_add_f64 v[46:47], v[110:111], v[46:47]
	v_fma_f64 v[82:83], s[50:51], v[32:33], v[38:39]
	v_fmac_f64_e32 v[38:39], s[6:7], v[32:33]
	v_add_f64 v[50:51], v[110:111], v[50:51]
	v_add_f64 v[38:39], v[38:39], v[46:47]
	v_mul_f64 v[46:47], v[2:3], s[20:21]
	v_add_f64 v[88:89], v[110:111], v[88:89]
	v_add_f64 v[86:87], v[110:111], v[86:87]
	;; [unrolled: 1-line block ×3, first 2 shown]
	v_fma_f64 v[82:83], s[54:55], v[32:33], v[46:47]
	v_fmac_f64_e32 v[46:47], s[12:13], v[32:33]
	v_mul_f64 v[84:85], v[2:3], s[28:29]
	v_add_f64 v[126:127], v[110:111], v[126:127]
	v_add_f64 v[82:83], v[82:83], v[88:89]
	;; [unrolled: 1-line block ×3, first 2 shown]
	v_fma_f64 v[86:87], s[52:53], v[32:33], v[84:85]
	v_fmac_f64_e32 v[84:85], s[26:27], v[32:33]
	v_mul_f64 v[88:89], v[2:3], s[38:39]
	v_add_f64 v[128:129], v[110:111], v[128:129]
	v_add_f64 v[132:133], v[110:111], v[132:133]
	;; [unrolled: 1-line block ×12, first 2 shown]
	v_fma_f64 v[110:111], s[48:49], v[32:33], v[88:89]
	v_fmac_f64_e32 v[88:89], s[36:37], v[32:33]
	v_mul_f64 v[126:127], v[2:3], s[34:35]
	v_add_f64 v[86:87], v[86:87], v[128:129]
	v_add_f64 v[88:89], v[88:89], v[130:131]
	v_fma_f64 v[128:129], s[30:31], v[32:33], v[126:127]
	v_fmac_f64_e32 v[126:127], s[42:43], v[32:33]
	v_mul_f64 v[130:131], v[2:3], s[24:25]
	v_add_f64 v[110:111], v[110:111], v[132:133]
	v_add_f64 v[126:127], v[126:127], v[134:135]
	v_fma_f64 v[132:133], s[22:23], v[32:33], v[130:131]
	v_fmac_f64_e32 v[130:131], s[40:41], v[32:33]
	v_mul_f64 v[134:135], v[2:3], s[18:19]
	v_mul_f64 v[2:3], v[2:3], s[14:15]
	v_add_f64 v[130:131], v[130:131], v[138:139]
	v_fma_f64 v[138:139], s[2:3], v[32:33], v[2:3]
	v_fmac_f64_e32 v[2:3], s[46:47], v[32:33]
	v_add_f64 v[2:3], v[2:3], v[28:29]
	v_add_f64 v[28:29], v[80:81], v[36:37]
	;; [unrolled: 1-line block ×3, first 2 shown]
	v_fma_f64 v[136:137], s[10:11], v[32:33], v[134:135]
	v_fmac_f64_e32 v[134:135], s[44:45], v[32:33]
	v_add_f64 v[32:33], v[78:79], -v[42:43]
	v_mul_f64 v[36:37], v[28:29], s[18:19]
	v_fma_f64 v[42:43], s[44:45], v[32:33], v[36:37]
	v_fmac_f64_e32 v[36:37], s[10:11], v[32:33]
	v_add_f64 v[36:37], v[36:37], v[38:39]
	v_mul_f64 v[38:39], v[28:29], s[28:29]
	v_add_f64 v[42:43], v[42:43], v[50:51]
	v_fma_f64 v[50:51], s[52:53], v[32:33], v[38:39]
	v_fmac_f64_e32 v[38:39], s[26:27], v[32:33]
	v_add_f64 v[38:39], v[38:39], v[46:47]
	v_mul_f64 v[46:47], v[28:29], s[38:39]
	v_fma_f64 v[78:79], s[36:37], v[32:33], v[46:47]
	v_fmac_f64_e32 v[46:47], s[48:49], v[32:33]
	v_mul_f64 v[80:81], v[28:29], s[24:25]
	v_add_f64 v[50:51], v[50:51], v[82:83]
	v_add_f64 v[46:47], v[46:47], v[84:85]
	v_fma_f64 v[82:83], s[22:23], v[32:33], v[80:81]
	v_fmac_f64_e32 v[80:81], s[40:41], v[32:33]
	v_mul_f64 v[84:85], v[28:29], s[16:17]
	v_add_f64 v[78:79], v[78:79], v[86:87]
	v_add_f64 v[80:81], v[80:81], v[88:89]
	;; [unrolled: 5-line block ×3, first 2 shown]
	v_fma_f64 v[110:111], s[46:47], v[32:33], v[88:89]
	v_fmac_f64_e32 v[88:89], s[2:3], v[32:33]
	v_mul_f64 v[126:127], v[28:29], s[20:21]
	v_mul_f64 v[28:29], v[28:29], s[34:35]
	v_add_f64 v[88:89], v[88:89], v[130:131]
	v_fma_f64 v[130:131], s[42:43], v[32:33], v[28:29]
	v_fmac_f64_e32 v[28:29], s[30:31], v[32:33]
	v_add_f64 v[2:3], v[28:29], v[2:3]
	v_add_f64 v[28:29], v[76:77], v[40:41]
	v_add_f64 v[86:87], v[86:87], v[128:129]
	v_fma_f64 v[128:129], s[54:55], v[32:33], v[126:127]
	v_fmac_f64_e32 v[126:127], s[12:13], v[32:33]
	v_add_f64 v[32:33], v[74:75], -v[104:105]
	v_mul_f64 v[40:41], v[28:29], s[20:21]
	v_fma_f64 v[74:75], s[54:55], v[32:33], v[40:41]
	v_fmac_f64_e32 v[40:41], s[12:13], v[32:33]
	v_add_f64 v[36:37], v[40:41], v[36:37]
	v_mul_f64 v[40:41], v[28:29], s[38:39]
	v_add_f64 v[42:43], v[74:75], v[42:43]
	v_fma_f64 v[74:75], s[48:49], v[32:33], v[40:41]
	v_fmac_f64_e32 v[40:41], s[36:37], v[32:33]
	v_add_f64 v[38:39], v[40:41], v[38:39]
	v_mul_f64 v[40:41], v[28:29], s[24:25]
	v_add_f64 v[50:51], v[74:75], v[50:51]
	;; [unrolled: 5-line block ×3, first 2 shown]
	v_fma_f64 v[76:77], s[2:3], v[32:33], v[46:47]
	v_fmac_f64_e32 v[46:47], s[46:47], v[32:33]
	v_mul_f64 v[78:79], v[28:29], s[18:19]
	v_add_f64 v[46:47], v[46:47], v[80:81]
	v_fma_f64 v[80:81], s[44:45], v[32:33], v[78:79]
	v_add_f64 v[76:77], v[76:77], v[82:83]
	v_add_f64 v[80:81], v[80:81], v[86:87]
	v_mul_f64 v[82:83], v[28:29], s[34:35]
	v_mul_f64 v[86:87], v[28:29], s[28:29]
	;; [unrolled: 1-line block ×3, first 2 shown]
	v_fmac_f64_e32 v[78:79], s[10:11], v[32:33]
	v_fma_f64 v[104:105], s[6:7], v[32:33], v[28:29]
	v_fmac_f64_e32 v[28:29], s[50:51], v[32:33]
	v_add_f64 v[78:79], v[78:79], v[84:85]
	v_fma_f64 v[84:85], s[42:43], v[32:33], v[82:83]
	v_fmac_f64_e32 v[82:83], s[30:31], v[32:33]
	v_add_f64 v[2:3], v[28:29], v[2:3]
	v_add_f64 v[28:29], v[100:101], v[48:49]
	;; [unrolled: 1-line block ×3, first 2 shown]
	v_fma_f64 v[88:89], s[26:27], v[32:33], v[86:87]
	v_fmac_f64_e32 v[86:87], s[52:53], v[32:33]
	v_add_f64 v[32:33], v[98:99], -v[102:103]
	v_mul_f64 v[48:49], v[28:29], s[24:25]
	v_fma_f64 v[98:99], s[40:41], v[32:33], v[48:49]
	v_fmac_f64_e32 v[48:49], s[22:23], v[32:33]
	v_add_f64 v[36:37], v[48:49], v[36:37]
	v_mul_f64 v[48:49], v[28:29], s[34:35]
	v_add_f64 v[42:43], v[98:99], v[42:43]
	v_fma_f64 v[98:99], s[30:31], v[32:33], v[48:49]
	v_fmac_f64_e32 v[48:49], s[42:43], v[32:33]
	v_add_f64 v[38:39], v[48:49], v[38:39]
	v_mul_f64 v[48:49], v[28:29], s[16:17]
	v_add_f64 v[50:51], v[98:99], v[50:51]
	;; [unrolled: 5-line block ×4, first 2 shown]
	v_fma_f64 v[98:99], s[48:49], v[32:33], v[48:49]
	v_fmac_f64_e32 v[48:49], s[36:37], v[32:33]
	v_add_f64 v[132:133], v[132:133], v[140:141]
	v_add_f64 v[48:49], v[48:49], v[78:79]
	v_mul_f64 v[78:79], v[28:29], s[20:21]
	v_add_f64 v[134:135], v[134:135], v[142:143]
	v_add_f64 v[110:111], v[110:111], v[132:133]
	;; [unrolled: 1-line block ×3, first 2 shown]
	v_fma_f64 v[98:99], s[12:13], v[32:33], v[78:79]
	v_fmac_f64_e32 v[78:79], s[54:55], v[32:33]
	v_add_f64 v[126:127], v[126:127], v[134:135]
	v_add_f64 v[84:85], v[84:85], v[110:111]
	;; [unrolled: 1-line block ×3, first 2 shown]
	v_mul_f64 v[82:83], v[28:29], s[14:15]
	v_add_f64 v[86:87], v[86:87], v[126:127]
	v_add_f64 v[84:85], v[98:99], v[84:85]
	v_fma_f64 v[98:99], s[46:47], v[32:33], v[82:83]
	v_fmac_f64_e32 v[82:83], s[2:3], v[32:33]
	v_mul_f64 v[28:29], v[28:29], s[28:29]
	v_add_f64 v[82:83], v[82:83], v[86:87]
	v_fma_f64 v[86:87], s[52:53], v[32:33], v[28:29]
	v_fmac_f64_e32 v[28:29], s[26:27], v[32:33]
	v_add_f64 v[2:3], v[28:29], v[2:3]
	v_add_f64 v[28:29], v[72:73], v[96:97]
	v_add_f64 v[32:33], v[70:71], -v[94:95]
	v_mul_f64 v[70:71], v[28:29], s[28:29]
	v_fma_f64 v[72:73], s[52:53], v[32:33], v[70:71]
	v_fmac_f64_e32 v[70:71], s[26:27], v[32:33]
	v_add_f64 v[36:37], v[70:71], v[36:37]
	v_mul_f64 v[70:71], v[28:29], s[24:25]
	v_add_f64 v[42:43], v[72:73], v[42:43]
	v_fma_f64 v[72:73], s[22:23], v[32:33], v[70:71]
	v_fmac_f64_e32 v[70:71], s[40:41], v[32:33]
	v_add_f64 v[38:39], v[70:71], v[38:39]
	v_mul_f64 v[70:71], v[28:29], s[14:15]
	v_add_f64 v[50:51], v[72:73], v[50:51]
	;; [unrolled: 5-line block ×6, first 2 shown]
	v_fma_f64 v[84:85], s[48:49], v[32:33], v[78:79]
	v_fmac_f64_e32 v[78:79], s[36:37], v[32:33]
	v_mul_f64 v[28:29], v[28:29], s[18:19]
	v_add_f64 v[78:79], v[78:79], v[82:83]
	v_fma_f64 v[82:83], s[10:11], v[32:33], v[28:29]
	v_fmac_f64_e32 v[28:29], s[44:45], v[32:33]
	v_add_f64 v[26:27], v[66:67], v[26:27]
	v_add_f64 v[2:3], v[28:29], v[2:3]
	v_add_f64 v[24:25], v[64:65], -v[24:25]
	v_mul_f64 v[28:29], v[26:27], s[34:35]
	v_fma_f64 v[32:33], s[42:43], v[24:25], v[28:29]
	v_fmac_f64_e32 v[28:29], s[30:31], v[24:25]
	v_add_f64 v[28:29], v[28:29], v[36:37]
	v_mul_f64 v[36:37], v[26:27], s[18:19]
	v_add_f64 v[32:33], v[32:33], v[42:43]
	v_fma_f64 v[42:43], s[10:11], v[24:25], v[36:37]
	v_fmac_f64_e32 v[36:37], s[44:45], v[24:25]
	v_add_f64 v[36:37], v[36:37], v[38:39]
	v_mul_f64 v[38:39], v[26:27], s[20:21]
	v_add_f64 v[42:43], v[42:43], v[50:51]
	v_fma_f64 v[50:51], s[54:55], v[24:25], v[38:39]
	v_fmac_f64_e32 v[38:39], s[12:13], v[24:25]
	v_add_f64 v[38:39], v[38:39], v[40:41]
	v_mul_f64 v[40:41], v[26:27], s[28:29]
	v_fma_f64 v[64:65], s[26:27], v[24:25], v[40:41]
	v_fmac_f64_e32 v[40:41], s[52:53], v[24:25]
	v_add_f64 v[40:41], v[40:41], v[46:47]
	v_mul_f64 v[46:47], v[26:27], s[14:15]
	;; [unrolled: 4-line block ×3, first 2 shown]
	v_add_f64 v[50:51], v[50:51], v[72:73]
	v_fma_f64 v[72:73], s[48:49], v[24:25], v[48:49]
	v_fmac_f64_e32 v[48:49], s[36:37], v[24:25]
	v_add_f64 v[48:49], v[48:49], v[70:71]
	v_mul_f64 v[70:71], v[26:27], s[16:17]
	v_mul_f64 v[26:27], v[26:27], s[24:25]
	v_add_f64 v[66:67], v[66:67], v[76:77]
	v_fma_f64 v[76:77], s[40:41], v[24:25], v[26:27]
	v_fmac_f64_e32 v[26:27], s[22:23], v[24:25]
	v_add_f64 v[64:65], v[64:65], v[74:75]
	v_fma_f64 v[74:75], s[6:7], v[24:25], v[70:71]
	v_fmac_f64_e32 v[70:71], s[50:51], v[24:25]
	v_add_f64 v[24:25], v[26:27], v[2:3]
	v_add_f64 v[26:27], v[58:59], v[62:63]
	v_add_f64 v[58:59], v[56:57], -v[60:61]
	v_mul_f64 v[2:3], v[26:27], s[38:39]
	v_fma_f64 v[56:57], s[48:49], v[58:59], v[2:3]
	v_fmac_f64_e32 v[2:3], s[36:37], v[58:59]
	v_add_f64 v[32:33], v[56:57], v[32:33]
	v_add_f64 v[56:57], v[2:3], v[28:29]
	v_mul_f64 v[2:3], v[26:27], s[14:15]
	v_fma_f64 v[28:29], s[2:3], v[58:59], v[2:3]
	v_fmac_f64_e32 v[2:3], s[46:47], v[58:59]
	v_add_f64 v[2:3], v[2:3], v[36:37]
	v_mul_f64 v[36:37], v[26:27], s[34:35]
	v_add_f64 v[28:29], v[28:29], v[42:43]
	v_fma_f64 v[42:43], s[42:43], v[58:59], v[36:37]
	v_fmac_f64_e32 v[36:37], s[30:31], v[58:59]
	v_add_f64 v[36:37], v[36:37], v[38:39]
	v_mul_f64 v[38:39], v[26:27], s[16:17]
	v_add_f64 v[42:43], v[42:43], v[50:51]
	v_fma_f64 v[50:51], s[6:7], v[58:59], v[38:39]
	v_fmac_f64_e32 v[38:39], s[50:51], v[58:59]
	v_add_f64 v[38:39], v[38:39], v[40:41]
	v_mul_f64 v[40:41], v[26:27], s[28:29]
	v_add_f64 v[136:137], v[136:137], v[144:145]
	v_add_f64 v[138:139], v[138:139], v[146:147]
	v_fma_f64 v[60:61], s[52:53], v[58:59], v[40:41]
	v_fmac_f64_e32 v[40:41], s[26:27], v[58:59]
	v_add_f64 v[128:129], v[128:129], v[136:137]
	v_add_f64 v[130:131], v[130:131], v[138:139]
	;; [unrolled: 1-line block ×3, first 2 shown]
	v_mul_f64 v[46:47], v[26:27], s[18:19]
	v_add_f64 v[88:89], v[88:89], v[128:129]
	v_add_f64 v[104:105], v[104:105], v[130:131]
	v_fma_f64 v[62:63], s[10:11], v[58:59], v[46:47]
	v_fmac_f64_e32 v[46:47], s[44:45], v[58:59]
	v_add_f64 v[88:89], v[98:99], v[88:89]
	v_add_f64 v[86:87], v[86:87], v[104:105]
	;; [unrolled: 1-line block ×3, first 2 shown]
	v_mul_f64 v[48:49], v[26:27], s[24:25]
	v_mul_f64 v[26:27], v[26:27], s[20:21]
	v_add_f64 v[84:85], v[84:85], v[88:89]
	v_add_f64 v[82:83], v[82:83], v[86:87]
	;; [unrolled: 1-line block ×3, first 2 shown]
	v_fma_f64 v[66:67], s[12:13], v[58:59], v[26:27]
	v_fmac_f64_e32 v[26:27], s[54:55], v[58:59]
	v_add_f64 v[72:73], v[72:73], v[80:81]
	v_add_f64 v[74:75], v[74:75], v[84:85]
	;; [unrolled: 1-line block ×5, first 2 shown]
	v_fma_f64 v[64:65], s[40:41], v[58:59], v[48:49]
	v_fmac_f64_e32 v[48:49], s[22:23], v[58:59]
	v_add_f64 v[24:25], v[26:27], v[24:25]
	v_add_f64 v[62:63], v[62:63], v[72:73]
	;; [unrolled: 1-line block ×5, first 2 shown]
	s_waitcnt lgkmcnt(0)
	; wave barrier
	s_waitcnt lgkmcnt(0)
	ds_write2_b64 v34, v[30:31], v[32:33] offset1:17
	ds_write2_b64 v34, v[28:29], v[42:43] offset0:34 offset1:51
	ds_write2_b64 v34, v[50:51], v[60:61] offset0:68 offset1:85
	ds_write2_b64 v34, v[62:63], v[64:65] offset0:102 offset1:119
	ds_write2_b64 v34, v[66:67], v[24:25] offset0:136 offset1:153
	ds_write2_b64 v34, v[48:49], v[46:47] offset0:170 offset1:187
	ds_write2_b64 v34, v[40:41], v[38:39] offset0:204 offset1:221
	ds_write2_b64 v34, v[36:37], v[2:3] offset0:238 offset1:255
	ds_write_b64 v34, v[56:57] offset:2176
	v_add_u32_e32 v36, 0x800, v44
	v_add_u32_e32 v24, 0xc00, v44
	;; [unrolled: 1-line block ×4, first 2 shown]
	s_waitcnt lgkmcnt(0)
	; wave barrier
	s_waitcnt lgkmcnt(0)
	ds_read_b64 v[62:63], v44
	ds_read2_b64 v[28:31], v36 offset0:33 offset1:84
	ds_read2_b64 v[24:27], v24 offset0:109 offset1:194
	;; [unrolled: 1-line block ×5, first 2 shown]
	ds_read_b64 v[64:65], v121
	ds_read_b64 v[66:67], v122
	;; [unrolled: 1-line block ×4, first 2 shown]
                                        ; implicit-def: $vgpr58_vgpr59
	s_and_saveexec_b64 s[2:3], s[0:1]
	s_cbranch_execz .LBB0_17
; %bb.16:
	ds_read_b64 v[2:3], v123
	ds_read_b64 v[56:57], v44 offset:4352
	ds_read_b64 v[58:59], v44 offset:6664
.LBB0_17:
	s_or_b64 exec, exec, s[2:3]
	s_and_saveexec_b64 s[2:3], vcc
	s_cbranch_execz .LBB0_20
; %bb.18:
	v_lshlrev_b32_e32 v60, 1, v119
	v_mov_b32_e32 v61, 0
	v_lshl_add_u64 v[44:45], v[60:61], 4, s[4:5]
	s_mov_b64 s[2:3], 0x1100
	v_add_co_u32_e32 v76, vcc, 0x1000, v44
	v_lshl_add_u64 v[74:75], v[44:45], 0, s[2:3]
	s_nop 0
	v_addc_co_u32_e32 v77, vcc, 0, v45, vcc
	v_lshlrev_b32_e32 v60, 1, v118
	s_movk_i32 s12, 0x1000
	global_load_dwordx4 v[44:47], v[76:77], off offset:256
	global_load_dwordx4 v[48:51], v[74:75], off offset:16
	v_lshl_add_u64 v[74:75], v[60:61], 4, s[4:5]
	v_add_co_u32_e32 v84, vcc, s12, v74
	v_lshl_add_u64 v[82:83], v[74:75], 0, s[2:3]
	s_nop 0
	v_addc_co_u32_e32 v85, vcc, 0, v75, vcc
	global_load_dwordx4 v[74:77], v[84:85], off offset:256
	global_load_dwordx4 v[78:81], v[82:83], off offset:16
	v_lshlrev_b32_e32 v60, 1, v117
	v_lshl_add_u64 v[86:87], v[60:61], 4, s[4:5]
	v_add_co_u32_e32 v82, vcc, s12, v86
	v_lshlrev_b32_e32 v60, 1, v120
	s_nop 0
	v_addc_co_u32_e32 v83, vcc, 0, v87, vcc
	v_lshl_add_u64 v[86:87], v[86:87], 0, s[2:3]
	global_load_dwordx4 v[82:85], v[82:83], off offset:256
	v_lshl_add_u64 v[98:99], v[60:61], 4, s[4:5]
	global_load_dwordx4 v[86:89], v[86:87], off offset:16
	v_add_co_u32_e32 v94, vcc, s12, v98
	v_lshlrev_b32_e32 v60, 1, v114
	s_nop 0
	v_addc_co_u32_e32 v95, vcc, 0, v99, vcc
	v_lshl_add_u64 v[98:99], v[98:99], 0, s[2:3]
	global_load_dwordx4 v[94:97], v[94:95], off offset:256
	v_lshl_add_u64 v[102:103], v[60:61], 4, s[4:5]
	global_load_dwordx4 v[98:101], v[98:99], off offset:16
	v_add_co_u32_e32 v122, vcc, s12, v102
	v_lshl_add_u64 v[110:111], v[102:103], 0, s[2:3]
	s_nop 0
	v_addc_co_u32_e32 v123, vcc, 0, v103, vcc
	global_load_dwordx4 v[102:105], v[122:123], off offset:256
	global_load_dwordx4 v[118:121], v[110:111], off offset:16
	s_mov_b32 s6, 0xe8584caa
	s_mov_b32 s7, 0xbfebb67a
	;; [unrolled: 1-line block ×4, first 2 shown]
	s_movk_i32 s14, 0x242
	s_waitcnt vmcnt(9)
	v_mul_f64 v[110:111], v[4:5], v[46:47]
	s_waitcnt vmcnt(8)
	v_mul_f64 v[122:123], v[22:23], v[50:51]
	s_waitcnt lgkmcnt(7)
	v_mul_f64 v[46:47], v[24:25], v[46:47]
	v_fma_f64 v[24:25], v[24:25], v[44:45], -v[110:111]
	s_waitcnt lgkmcnt(4)
	v_mul_f64 v[50:51], v[42:43], v[50:51]
	v_fma_f64 v[42:43], v[42:43], v[48:49], -v[122:123]
	v_fmac_f64_e32 v[46:47], v[4:5], v[44:45]
	s_waitcnt vmcnt(7)
	v_mul_f64 v[124:125], v[18:19], v[76:77]
	s_waitcnt vmcnt(6)
	v_mul_f64 v[126:127], v[20:21], v[80:81]
	v_mul_f64 v[80:81], v[40:41], v[80:81]
	;; [unrolled: 1-line block ×3, first 2 shown]
	v_fma_f64 v[4:5], v[38:39], v[74:75], -v[124:125]
	v_fmac_f64_e32 v[80:81], v[20:21], v[78:79]
	s_waitcnt lgkmcnt(0)
	v_add_f64 v[20:21], v[72:73], v[24:25]
	v_fma_f64 v[110:111], v[40:41], v[78:79], -v[126:127]
	v_fmac_f64_e32 v[76:77], v[18:19], v[74:75]
	v_add_f64 v[18:19], v[24:25], v[42:43]
	v_add_f64 v[74:75], v[24:25], -v[42:43]
	v_add_f64 v[40:41], v[20:21], v[42:43]
	v_add_f64 v[42:43], v[70:71], v[4:5]
	v_fmac_f64_e32 v[50:51], v[22:23], v[48:49]
	v_add_f64 v[44:45], v[4:5], v[110:111]
	v_fma_f64 v[24:25], -0.5, v[18:19], v[72:73]
	v_add_f64 v[72:73], v[42:43], v[110:111]
	v_add_f64 v[42:43], v[76:77], v[80:81]
	v_add_f64 v[48:49], v[46:47], -v[50:51]
	v_add_f64 v[22:23], v[46:47], v[50:51]
	v_add_f64 v[38:39], v[112:113], v[46:47]
	v_add_f64 v[46:47], v[76:77], -v[80:81]
	v_fma_f64 v[44:45], -0.5, v[44:45], v[70:71]
	v_add_f64 v[4:5], v[4:5], -v[110:111]
	v_fma_f64 v[42:43], -0.5, v[42:43], v[108:109]
	v_fma_f64 v[20:21], s[6:7], v[48:49], v[24:25]
	v_fmac_f64_e32 v[24:25], s[10:11], v[48:49]
	v_fma_f64 v[48:49], s[6:7], v[46:47], v[44:45]
	v_fmac_f64_e32 v[44:45], s[10:11], v[46:47]
	;; [unrolled: 2-line block ×3, first 2 shown]
	v_add_f64 v[4:5], v[108:109], v[76:77]
	v_add_f64 v[38:39], v[38:39], v[50:51]
	v_add_f64 v[70:71], v[4:5], v[80:81]
	s_waitcnt vmcnt(5)
	v_mul_f64 v[4:5], v[16:17], v[84:85]
	s_waitcnt vmcnt(4)
	v_mul_f64 v[50:51], v[14:15], v[88:89]
	v_fma_f64 v[22:23], -0.5, v[22:23], v[112:113]
	v_fma_f64 v[4:5], v[36:37], v[82:83], -v[4:5]
	v_fma_f64 v[50:51], v[34:35], v[86:87], -v[50:51]
	v_mul_f64 v[78:79], v[36:37], v[84:85]
	v_mul_f64 v[34:35], v[34:35], v[88:89]
	v_fma_f64 v[18:19], s[10:11], v[74:75], v[22:23]
	v_fmac_f64_e32 v[22:23], s[6:7], v[74:75]
	v_add_f64 v[74:75], v[4:5], v[50:51]
	v_fmac_f64_e32 v[78:79], v[16:17], v[82:83]
	v_fmac_f64_e32 v[34:35], v[14:15], v[86:87]
	v_fma_f64 v[76:77], -0.5, v[74:75], v[66:67]
	v_add_f64 v[14:15], v[78:79], -v[34:35]
	v_fma_f64 v[16:17], s[6:7], v[14:15], v[76:77]
	v_fmac_f64_e32 v[76:77], s[10:11], v[14:15]
	v_add_f64 v[14:15], v[66:67], v[4:5]
	v_add_f64 v[36:37], v[14:15], v[50:51]
	;; [unrolled: 1-line block ×3, first 2 shown]
	v_add_f64 v[4:5], v[4:5], -v[50:51]
	v_fma_f64 v[74:75], -0.5, v[14:15], v[106:107]
	v_fma_f64 v[14:15], s[10:11], v[4:5], v[74:75]
	v_fmac_f64_e32 v[74:75], s[6:7], v[4:5]
	v_add_f64 v[4:5], v[106:107], v[78:79]
	v_add_f64 v[34:35], v[4:5], v[34:35]
	s_waitcnt vmcnt(3)
	v_mul_f64 v[4:5], v[10:11], v[96:97]
	s_waitcnt vmcnt(2)
	v_mul_f64 v[50:51], v[12:13], v[100:101]
	v_fma_f64 v[4:5], v[30:31], v[94:95], -v[4:5]
	v_fma_f64 v[50:51], v[32:33], v[98:99], -v[50:51]
	v_mul_f64 v[30:31], v[30:31], v[96:97]
	v_mul_f64 v[78:79], v[32:33], v[100:101]
	v_add_f64 v[66:67], v[4:5], v[50:51]
	v_fmac_f64_e32 v[30:31], v[10:11], v[94:95]
	v_fmac_f64_e32 v[78:79], v[12:13], v[98:99]
	v_fma_f64 v[66:67], -0.5, v[66:67], v[64:65]
	v_add_f64 v[10:11], v[30:31], -v[78:79]
	v_fma_f64 v[12:13], s[6:7], v[10:11], v[66:67]
	v_fmac_f64_e32 v[66:67], s[10:11], v[10:11]
	v_add_f64 v[10:11], v[64:65], v[4:5]
	v_add_f64 v[32:33], v[10:11], v[50:51]
	;; [unrolled: 1-line block ×3, first 2 shown]
	v_add_f64 v[4:5], v[4:5], -v[50:51]
	v_fma_f64 v[64:65], -0.5, v[10:11], v[92:93]
	v_fma_f64 v[10:11], s[10:11], v[4:5], v[64:65]
	v_fmac_f64_e32 v[64:65], s[6:7], v[4:5]
	v_add_f64 v[4:5], v[92:93], v[30:31]
	v_add_f64 v[30:31], v[4:5], v[78:79]
	s_waitcnt vmcnt(1)
	v_mul_f64 v[4:5], v[8:9], v[104:105]
	s_waitcnt vmcnt(0)
	v_mul_f64 v[50:51], v[6:7], v[120:121]
	v_mul_f64 v[82:83], v[28:29], v[104:105]
	v_fma_f64 v[4:5], v[28:29], v[102:103], -v[4:5]
	v_fma_f64 v[50:51], v[26:27], v[118:119], -v[50:51]
	v_fmac_f64_e32 v[82:83], v[8:9], v[102:103]
	v_mul_f64 v[8:9], v[26:27], v[120:121]
	v_add_f64 v[78:79], v[4:5], v[50:51]
	v_fmac_f64_e32 v[8:9], v[6:7], v[118:119]
	v_fma_f64 v[80:81], -0.5, v[78:79], v[62:63]
	v_add_f64 v[26:27], v[82:83], -v[8:9]
	v_fma_f64 v[6:7], s[6:7], v[26:27], v[80:81]
	v_fmac_f64_e32 v[80:81], s[10:11], v[26:27]
	v_add_f64 v[26:27], v[62:63], v[4:5]
	v_add_f64 v[28:29], v[26:27], v[50:51]
	v_add_f64 v[26:27], v[4:5], -v[50:51]
	v_add_f64 v[4:5], v[82:83], v[8:9]
	v_fma_f64 v[78:79], -0.5, v[4:5], v[90:91]
	v_fma_f64 v[4:5], s[10:11], v[26:27], v[78:79]
	v_fmac_f64_e32 v[78:79], s[6:7], v[26:27]
	v_add_f64 v[26:27], v[90:91], v[82:83]
	v_add_f64 v[26:27], v[26:27], v[8:9]
	v_mad_u64_u32 v[8:9], s[12:13], s8, v114, 0
	v_mov_b32_e32 v50, v9
	v_mad_u64_u32 v[50:51], s[12:13], s9, v114, v[50:51]
	v_mov_b32_e32 v9, v50
	v_lshl_add_u64 v[8:9], v[8:9], 4, v[68:69]
	global_store_dwordx4 v[8:9], v[26:29], off
	s_nop 1
	v_add_u32_e32 v27, 0x121, v114
	v_mad_u64_u32 v[8:9], s[12:13], s8, v27, 0
	v_mov_b32_e32 v26, v9
	v_mad_u64_u32 v[26:27], s[12:13], s9, v27, v[26:27]
	v_mov_b32_e32 v9, v26
	v_lshl_add_u64 v[8:9], v[8:9], 4, v[68:69]
	v_add_u32_e32 v27, 0x242, v114
	global_store_dwordx4 v[8:9], v[78:81], off
	v_mad_u64_u32 v[8:9], s[12:13], s8, v27, 0
	v_mov_b32_e32 v26, v9
	v_mad_u64_u32 v[26:27], s[12:13], s9, v27, v[26:27]
	v_mov_b32_e32 v9, v26
	v_lshl_add_u64 v[8:9], v[8:9], 4, v[68:69]
	global_store_dwordx4 v[8:9], v[4:7], off
	s_nop 1
	v_mad_u64_u32 v[4:5], s[12:13], s8, v116, 0
	v_mov_b32_e32 v6, v5
	v_mad_u64_u32 v[6:7], s[12:13], s9, v116, v[6:7]
	v_mov_b32_e32 v5, v6
	v_lshl_add_u64 v[4:5], v[4:5], 4, v[68:69]
	v_add_u32_e32 v7, 0x154, v114
	global_store_dwordx4 v[4:5], v[30:33], off
	v_mad_u64_u32 v[4:5], s[12:13], s8, v7, 0
	v_mov_b32_e32 v6, v5
	v_mad_u64_u32 v[6:7], s[12:13], s9, v7, v[6:7]
	v_mov_b32_e32 v5, v6
	v_lshl_add_u64 v[4:5], v[4:5], 4, v[68:69]
	v_add_u32_e32 v7, 0x275, v114
	global_store_dwordx4 v[4:5], v[64:67], off
	;; [unrolled: 7-line block ×8, first 2 shown]
	v_mad_u64_u32 v[4:5], s[12:13], s8, v7, 0
	v_mov_b32_e32 v6, v5
	v_mad_u64_u32 v[6:7], s[12:13], s9, v7, v[6:7]
	v_mov_b32_e32 v5, v6
	v_lshl_add_u64 v[4:5], v[4:5], 4, v[68:69]
	global_store_dwordx4 v[4:5], v[46:49], off
	v_add_u32_e32 v4, 0xcc, v114
	s_mov_b32 s12, 0xe2c4a689
	v_mul_hi_u32 v5, v4, s12
	v_lshrrev_b32_e32 v5, 8, v5
	v_mad_u32_u24 v8, v5, s14, v4
	v_mad_u64_u32 v[4:5], s[12:13], s8, v8, 0
	v_mov_b32_e32 v6, v5
	v_mad_u64_u32 v[6:7], s[12:13], s9, v8, v[6:7]
	v_mov_b32_e32 v5, v6
	v_lshl_add_u64 v[4:5], v[4:5], 4, v[68:69]
	v_add_u32_e32 v7, 0x121, v8
	global_store_dwordx4 v[4:5], v[38:41], off
	v_mad_u64_u32 v[4:5], s[12:13], s8, v7, 0
	v_mov_b32_e32 v6, v5
	v_mad_u64_u32 v[6:7], s[12:13], s9, v7, v[6:7]
	v_mov_b32_e32 v5, v6
	v_lshl_add_u64 v[4:5], v[4:5], 4, v[68:69]
	v_add_u32_e32 v7, 0x242, v8
	global_store_dwordx4 v[4:5], v[22:25], off
	v_mad_u64_u32 v[4:5], s[12:13], s8, v7, 0
	v_mov_b32_e32 v6, v5
	v_mad_u64_u32 v[6:7], s[12:13], s9, v7, v[6:7]
	v_mov_b32_e32 v5, v6
	v_lshl_add_u64 v[4:5], v[4:5], 4, v[68:69]
	global_store_dwordx4 v[4:5], v[18:21], off
	s_and_b64 exec, exec, s[0:1]
	s_cbranch_execz .LBB0_20
; %bb.19:
	v_subrev_u32_e32 v4, 34, v114
	v_cndmask_b32_e64 v4, v4, v115, s[0:1]
	v_lshlrev_b32_e32 v60, 1, v4
	v_lshl_add_u64 v[8:9], v[60:61], 4, s[4:5]
	v_add_co_u32_e32 v4, vcc, 0x1000, v8
	v_add_u32_e32 v19, 0xff, v114
	s_nop 0
	v_addc_co_u32_e32 v5, vcc, 0, v9, vcc
	v_lshl_add_u64 v[8:9], v[8:9], 0, s[2:3]
	global_load_dwordx4 v[4:7], v[4:5], off offset:256
	v_add_u32_e32 v21, 0x220, v114
	global_load_dwordx4 v[8:11], v[8:9], off offset:16
	v_mad_u64_u32 v[12:13], s[0:1], s8, v19, 0
	v_mad_u64_u32 v[14:15], s[0:1], s8, v21, 0
	v_mov_b32_e32 v18, v13
	v_mov_b32_e32 v20, v15
	v_add_u32_e32 v23, 0x341, v114
	v_mad_u64_u32 v[18:19], s[0:1], s9, v19, v[18:19]
	v_mad_u64_u32 v[20:21], s[0:1], s9, v21, v[20:21]
	;; [unrolled: 1-line block ×3, first 2 shown]
	v_mov_b32_e32 v13, v18
	v_mov_b32_e32 v15, v20
	;; [unrolled: 1-line block ×3, first 2 shown]
	v_mad_u64_u32 v[22:23], s[0:1], s9, v23, v[22:23]
	v_mov_b32_e32 v17, v22
	v_lshl_add_u64 v[12:13], v[12:13], 4, v[68:69]
	v_lshl_add_u64 v[14:15], v[14:15], 4, v[68:69]
	;; [unrolled: 1-line block ×3, first 2 shown]
	s_waitcnt vmcnt(1)
	v_mul_f64 v[18:19], v[56:57], v[6:7]
	v_mul_f64 v[6:7], v[52:53], v[6:7]
	s_waitcnt vmcnt(0)
	v_mul_f64 v[20:21], v[58:59], v[10:11]
	v_mul_f64 v[10:11], v[54:55], v[10:11]
	v_fmac_f64_e32 v[18:19], v[52:53], v[4:5]
	v_fma_f64 v[4:5], v[56:57], v[4:5], -v[6:7]
	v_fmac_f64_e32 v[20:21], v[54:55], v[8:9]
	v_fma_f64 v[6:7], v[58:59], v[8:9], -v[10:11]
	v_add_f64 v[8:9], v[0:1], v[18:19]
	v_add_f64 v[10:11], v[18:19], v[20:21]
	;; [unrolled: 1-line block ×4, first 2 shown]
	v_add_f64 v[22:23], v[4:5], -v[6:7]
	v_add_f64 v[18:19], v[18:19], -v[20:21]
	v_add_f64 v[4:5], v[8:9], v[20:21]
	v_fmac_f64_e32 v[0:1], -0.5, v[10:11]
	v_add_f64 v[6:7], v[24:25], v[6:7]
	v_fmac_f64_e32 v[2:3], -0.5, v[26:27]
	v_fma_f64 v[8:9], s[6:7], v[22:23], v[0:1]
	v_fmac_f64_e32 v[0:1], s[10:11], v[22:23]
	v_fma_f64 v[10:11], s[10:11], v[18:19], v[2:3]
	v_fmac_f64_e32 v[2:3], s[6:7], v[18:19]
	global_store_dwordx4 v[12:13], v[4:7], off
	global_store_dwordx4 v[14:15], v[8:11], off
	;; [unrolled: 1-line block ×3, first 2 shown]
.LBB0_20:
	s_endpgm
	.section	.rodata,"a",@progbits
	.p2align	6, 0x0
	.amdhsa_kernel fft_rtc_back_len867_factors_17_17_3_wgs_51_tpt_51_halfLds_dp_ip_CI_sbrr_dirReg
		.amdhsa_group_segment_fixed_size 0
		.amdhsa_private_segment_fixed_size 0
		.amdhsa_kernarg_size 88
		.amdhsa_user_sgpr_count 2
		.amdhsa_user_sgpr_dispatch_ptr 0
		.amdhsa_user_sgpr_queue_ptr 0
		.amdhsa_user_sgpr_kernarg_segment_ptr 1
		.amdhsa_user_sgpr_dispatch_id 0
		.amdhsa_user_sgpr_kernarg_preload_length 0
		.amdhsa_user_sgpr_kernarg_preload_offset 0
		.amdhsa_user_sgpr_private_segment_size 0
		.amdhsa_uses_dynamic_stack 0
		.amdhsa_enable_private_segment 0
		.amdhsa_system_sgpr_workgroup_id_x 1
		.amdhsa_system_sgpr_workgroup_id_y 0
		.amdhsa_system_sgpr_workgroup_id_z 0
		.amdhsa_system_sgpr_workgroup_info 0
		.amdhsa_system_vgpr_workitem_id 0
		.amdhsa_next_free_vgpr 164
		.amdhsa_next_free_sgpr 58
		.amdhsa_accum_offset 164
		.amdhsa_reserve_vcc 1
		.amdhsa_float_round_mode_32 0
		.amdhsa_float_round_mode_16_64 0
		.amdhsa_float_denorm_mode_32 3
		.amdhsa_float_denorm_mode_16_64 3
		.amdhsa_dx10_clamp 1
		.amdhsa_ieee_mode 1
		.amdhsa_fp16_overflow 0
		.amdhsa_tg_split 0
		.amdhsa_exception_fp_ieee_invalid_op 0
		.amdhsa_exception_fp_denorm_src 0
		.amdhsa_exception_fp_ieee_div_zero 0
		.amdhsa_exception_fp_ieee_overflow 0
		.amdhsa_exception_fp_ieee_underflow 0
		.amdhsa_exception_fp_ieee_inexact 0
		.amdhsa_exception_int_div_zero 0
	.end_amdhsa_kernel
	.text
.Lfunc_end0:
	.size	fft_rtc_back_len867_factors_17_17_3_wgs_51_tpt_51_halfLds_dp_ip_CI_sbrr_dirReg, .Lfunc_end0-fft_rtc_back_len867_factors_17_17_3_wgs_51_tpt_51_halfLds_dp_ip_CI_sbrr_dirReg
                                        ; -- End function
	.section	.AMDGPU.csdata,"",@progbits
; Kernel info:
; codeLenInByte = 17128
; NumSgprs: 64
; NumVgprs: 164
; NumAgprs: 0
; TotalNumVgprs: 164
; ScratchSize: 0
; MemoryBound: 1
; FloatMode: 240
; IeeeMode: 1
; LDSByteSize: 0 bytes/workgroup (compile time only)
; SGPRBlocks: 7
; VGPRBlocks: 20
; NumSGPRsForWavesPerEU: 64
; NumVGPRsForWavesPerEU: 164
; AccumOffset: 164
; Occupancy: 3
; WaveLimiterHint : 1
; COMPUTE_PGM_RSRC2:SCRATCH_EN: 0
; COMPUTE_PGM_RSRC2:USER_SGPR: 2
; COMPUTE_PGM_RSRC2:TRAP_HANDLER: 0
; COMPUTE_PGM_RSRC2:TGID_X_EN: 1
; COMPUTE_PGM_RSRC2:TGID_Y_EN: 0
; COMPUTE_PGM_RSRC2:TGID_Z_EN: 0
; COMPUTE_PGM_RSRC2:TIDIG_COMP_CNT: 0
; COMPUTE_PGM_RSRC3_GFX90A:ACCUM_OFFSET: 40
; COMPUTE_PGM_RSRC3_GFX90A:TG_SPLIT: 0
	.text
	.p2alignl 6, 3212836864
	.fill 256, 4, 3212836864
	.type	__hip_cuid_694679f5ccf66116,@object ; @__hip_cuid_694679f5ccf66116
	.section	.bss,"aw",@nobits
	.globl	__hip_cuid_694679f5ccf66116
__hip_cuid_694679f5ccf66116:
	.byte	0                               ; 0x0
	.size	__hip_cuid_694679f5ccf66116, 1

	.ident	"AMD clang version 19.0.0git (https://github.com/RadeonOpenCompute/llvm-project roc-6.4.0 25133 c7fe45cf4b819c5991fe208aaa96edf142730f1d)"
	.section	".note.GNU-stack","",@progbits
	.addrsig
	.addrsig_sym __hip_cuid_694679f5ccf66116
	.amdgpu_metadata
---
amdhsa.kernels:
  - .agpr_count:     0
    .args:
      - .actual_access:  read_only
        .address_space:  global
        .offset:         0
        .size:           8
        .value_kind:     global_buffer
      - .offset:         8
        .size:           8
        .value_kind:     by_value
      - .actual_access:  read_only
        .address_space:  global
        .offset:         16
        .size:           8
        .value_kind:     global_buffer
      - .actual_access:  read_only
        .address_space:  global
        .offset:         24
        .size:           8
        .value_kind:     global_buffer
      - .offset:         32
        .size:           8
        .value_kind:     by_value
      - .actual_access:  read_only
        .address_space:  global
        .offset:         40
        .size:           8
        .value_kind:     global_buffer
      - .actual_access:  read_only
        .address_space:  global
        .offset:         48
        .size:           8
        .value_kind:     global_buffer
      - .offset:         56
        .size:           4
        .value_kind:     by_value
      - .actual_access:  read_only
        .address_space:  global
        .offset:         64
        .size:           8
        .value_kind:     global_buffer
      - .actual_access:  read_only
        .address_space:  global
        .offset:         72
        .size:           8
        .value_kind:     global_buffer
      - .address_space:  global
        .offset:         80
        .size:           8
        .value_kind:     global_buffer
    .group_segment_fixed_size: 0
    .kernarg_segment_align: 8
    .kernarg_segment_size: 88
    .language:       OpenCL C
    .language_version:
      - 2
      - 0
    .max_flat_workgroup_size: 51
    .name:           fft_rtc_back_len867_factors_17_17_3_wgs_51_tpt_51_halfLds_dp_ip_CI_sbrr_dirReg
    .private_segment_fixed_size: 0
    .sgpr_count:     64
    .sgpr_spill_count: 0
    .symbol:         fft_rtc_back_len867_factors_17_17_3_wgs_51_tpt_51_halfLds_dp_ip_CI_sbrr_dirReg.kd
    .uniform_work_group_size: 1
    .uses_dynamic_stack: false
    .vgpr_count:     164
    .vgpr_spill_count: 0
    .wavefront_size: 64
amdhsa.target:   amdgcn-amd-amdhsa--gfx950
amdhsa.version:
  - 1
  - 2
...

	.end_amdgpu_metadata
